;; amdgpu-corpus repo=ROCm/rocFFT kind=compiled arch=gfx1030 opt=O3
	.text
	.amdgcn_target "amdgcn-amd-amdhsa--gfx1030"
	.amdhsa_code_object_version 6
	.protected	bluestein_single_back_len221_dim1_dp_op_CI_CI ; -- Begin function bluestein_single_back_len221_dim1_dp_op_CI_CI
	.globl	bluestein_single_back_len221_dim1_dp_op_CI_CI
	.p2align	8
	.type	bluestein_single_back_len221_dim1_dp_op_CI_CI,@function
bluestein_single_back_len221_dim1_dp_op_CI_CI: ; @bluestein_single_back_len221_dim1_dp_op_CI_CI
; %bb.0:
	s_mov_b64 s[62:63], s[2:3]
	s_mov_b64 s[60:61], s[0:1]
	s_load_dwordx4 s[0:3], s[4:5], 0x28
	v_mul_u32_u24_e32 v1, 0xf10, v0
	s_add_u32 s60, s60, s7
	s_addc_u32 s61, s61, 0
	v_lshrrev_b32_e32 v1, 16, v1
	v_mad_u64_u32 v[120:121], null, s6, 7, v[1:2]
	v_mov_b32_e32 v121, 0
	s_waitcnt lgkmcnt(0)
	v_cmp_gt_u64_e32 vcc_lo, s[0:1], v[120:121]
	s_and_saveexec_b32 s0, vcc_lo
	s_cbranch_execz .LBB0_15
; %bb.1:
	v_mul_hi_u32 v2, 0x24924925, v120
	v_mul_lo_u16 v1, v1, 17
	s_clause 0x1
	s_load_dwordx2 s[12:13], s[4:5], 0x0
	s_load_dwordx2 s[14:15], s[4:5], 0x38
	v_sub_nc_u16 v0, v0, v1
	v_sub_nc_u32_e32 v3, v120, v2
	v_cmp_gt_u16_e32 vcc_lo, 13, v0
	v_lshrrev_b32_e32 v3, 1, v3
	v_add_nc_u32_e32 v2, v3, v2
	v_lshrrev_b32_e32 v2, 2, v2
	v_mul_lo_u32 v2, v2, 7
	v_sub_nc_u32_e32 v1, v120, v2
	v_and_b32_e32 v2, 0xffff, v0
	v_mul_u32_u24_e32 v1, 0xdd, v1
	v_lshlrev_b32_e32 v0, 4, v1
	v_mov_b32_e32 v255, v1
	buffer_store_dword v0, off, s[60:63], 0 offset:4 ; 4-byte Folded Spill
	buffer_store_dword v2, off, s[60:63], 0 ; 4-byte Folded Spill
	v_or_b32_e32 v0, 0xd0, v2
	buffer_store_dword v0, off, s[60:63], 0 offset:56 ; 4-byte Folded Spill
	s_and_saveexec_b32 s1, vcc_lo
	s_cbranch_execz .LBB0_3
; %bb.2:
	buffer_load_dword v154, off, s[60:63], 0 ; 4-byte Folded Reload
	s_load_dwordx2 s[6:7], s[4:5], 0x18
	s_waitcnt lgkmcnt(0)
	s_load_dwordx4 s[8:11], s[6:7], 0x0
	s_waitcnt lgkmcnt(0)
	v_mad_u64_u32 v[60:61], null, s10, v120, 0
	s_mul_i32 s6, s9, 0xd0
	s_mul_hi_u32 s7, s8, 0xd0
	s_add_i32 s7, s7, s6
	v_mov_b32_e32 v44, v61
	s_waitcnt vmcnt(0)
	v_lshlrev_b32_e32 v153, 4, v154
	v_mad_u64_u32 v[62:63], null, s8, v154, 0
	s_clause 0x8
	global_load_dwordx4 v[0:3], v153, s[12:13] offset:208
	global_load_dwordx4 v[4:7], v153, s[12:13] offset:416
	;; [unrolled: 1-line block ×9, first 2 shown]
	buffer_load_dword v68, off, s[60:63], 0 offset:56 ; 4-byte Folded Reload
	v_add_co_u32 v36, s0, s12, v153
	v_mov_b32_e32 v45, v63
	v_add_co_ci_u32_e64 v37, null, s13, 0, s0
	v_add_co_u32 v129, s0, 0x800, v36
	v_mad_u64_u32 v[63:64], null, s11, v120, v[44:45]
	v_mad_u64_u32 v[66:67], null, s9, v154, v[45:46]
	v_add_co_ci_u32_e64 v130, s0, 0, v37, s0
	v_mov_b32_e32 v61, v63
	v_mov_b32_e32 v63, v66
	v_lshlrev_b64 v[60:61], 4, v[60:61]
	v_lshlrev_b64 v[62:63], 4, v[62:63]
	v_add_co_u32 v70, s0, s2, v60
	v_add_co_ci_u32_e64 v71, s0, s3, v61, s0
	s_waitcnt vmcnt(0)
	v_mad_u64_u32 v[64:65], null, s8, v68, 0
	s_mulk_i32 s8, 0xd0
	v_lshlrev_b32_e32 v40, 4, v68
	s_clause 0x1
	global_load_dwordx4 v[36:39], v153, s[12:13]
	global_load_dwordx4 v[40:43], v40, s[12:13]
	v_mad_u64_u32 v[65:66], null, s9, v68, v[65:66]
	v_add_co_u32 v66, s0, v70, v62
	v_add_co_ci_u32_e64 v67, s0, v71, v63, s0
	s_clause 0x3
	global_load_dwordx4 v[44:47], v[129:130], off offset:32
	global_load_dwordx4 v[48:51], v[129:130], off offset:240
	;; [unrolled: 1-line block ×4, first 2 shown]
	v_add_co_u32 v68, s0, v66, s8
	v_add_co_ci_u32_e64 v69, s0, s7, v67, s0
	v_lshlrev_b64 v[60:61], 4, v[64:65]
	v_add_co_u32 v72, s0, v68, s8
	v_add_co_ci_u32_e64 v73, s0, s7, v69, s0
	v_add_co_u32 v60, s0, v70, v60
	v_add_co_ci_u32_e64 v61, s0, v71, v61, s0
	v_add_co_u32 v76, s0, v72, s8
	v_add_co_ci_u32_e64 v77, s0, s7, v73, s0
	global_load_dwordx4 v[60:63], v[60:61], off
	v_add_co_u32 v80, s0, v76, s8
	v_add_co_ci_u32_e64 v81, s0, s7, v77, s0
	s_clause 0x1
	global_load_dwordx4 v[64:67], v[66:67], off
	global_load_dwordx4 v[68:71], v[68:69], off
	v_add_co_u32 v84, s0, v80, s8
	v_add_co_ci_u32_e64 v85, s0, s7, v81, s0
	s_clause 0x1
	global_load_dwordx4 v[72:75], v[72:73], off
	global_load_dwordx4 v[76:79], v[76:77], off
	v_add_co_u32 v88, s0, v84, s8
	v_add_co_ci_u32_e64 v89, s0, s7, v85, s0
	global_load_dwordx4 v[80:83], v[80:81], off
	v_add_co_u32 v92, s0, v88, s8
	v_add_co_ci_u32_e64 v93, s0, s7, v89, s0
	;; [unrolled: 3-line block ×10, first 2 shown]
	global_load_dwordx4 v[116:119], v[116:117], off
	global_load_dwordx4 v[121:124], v[121:122], off
	s_clause 0x1
	global_load_dwordx4 v[125:128], v[129:130], off offset:864
	global_load_dwordx4 v[129:132], v[129:130], off offset:1072
	global_load_dwordx4 v[133:136], v[133:134], off
	s_waitcnt vmcnt(18)
	v_mul_f64 v[139:140], v[62:63], v[42:43]
	v_mul_f64 v[151:152], v[60:61], v[42:43]
	s_waitcnt vmcnt(17)
	v_mul_f64 v[137:138], v[66:67], v[38:39]
	v_mul_f64 v[38:39], v[64:65], v[38:39]
	;; [unrolled: 3-line block ×7, first 2 shown]
	v_fma_f64 v[2:3], v[60:61], v[40:41], v[139:140]
	v_fma_f64 v[64:65], v[64:65], v[36:37], v[137:138]
	v_fma_f64 v[66:67], v[66:67], v[36:37], -v[38:39]
	v_fma_f64 v[36:37], v[68:69], v[0:1], v[141:142]
	v_fma_f64 v[38:39], v[70:71], v[0:1], -v[143:144]
	s_waitcnt vmcnt(11)
	v_mul_f64 v[0:1], v[90:91], v[22:23]
	v_mul_f64 v[22:23], v[88:89], v[22:23]
	v_fma_f64 v[68:69], v[72:73], v[4:5], v[145:146]
	v_fma_f64 v[70:71], v[74:75], v[4:5], -v[6:7]
	s_waitcnt vmcnt(10)
	v_mul_f64 v[4:5], v[94:95], v[26:27]
	v_mul_f64 v[26:27], v[92:93], v[26:27]
	s_waitcnt vmcnt(9)
	v_mul_f64 v[60:61], v[98:99], v[30:31]
	v_mul_f64 v[30:31], v[96:97], v[30:31]
	v_fma_f64 v[6:7], v[76:77], v[8:9], v[147:148]
	v_fma_f64 v[8:9], v[78:79], v[8:9], -v[10:11]
	s_waitcnt vmcnt(8)
	v_mul_f64 v[72:73], v[102:103], v[34:35]
	v_mul_f64 v[34:35], v[100:101], v[34:35]
	v_fma_f64 v[10:11], v[80:81], v[12:13], v[149:150]
	v_fma_f64 v[12:13], v[82:83], v[12:13], -v[14:15]
	v_fma_f64 v[14:15], v[84:85], v[16:17], v[42:43]
	s_waitcnt vmcnt(7)
	v_mul_f64 v[74:75], v[106:107], v[46:47]
	v_mul_f64 v[46:47], v[104:105], v[46:47]
	v_fma_f64 v[16:17], v[86:87], v[16:17], -v[18:19]
	s_waitcnt vmcnt(6)
	v_mul_f64 v[76:77], v[110:111], v[50:51]
	v_mul_f64 v[50:51], v[108:109], v[50:51]
	v_fma_f64 v[18:19], v[88:89], v[20:21], v[0:1]
	v_fma_f64 v[20:21], v[90:91], v[20:21], -v[22:23]
	v_lshlrev_b32_e32 v1, 4, v255
	s_waitcnt vmcnt(5)
	v_mul_f64 v[78:79], v[114:115], v[54:55]
	v_mul_f64 v[54:55], v[112:113], v[54:55]
	s_waitcnt vmcnt(4)
	v_mul_f64 v[80:81], v[118:119], v[58:59]
	v_mul_f64 v[58:59], v[116:117], v[58:59]
	;; [unrolled: 3-line block ×4, first 2 shown]
	v_fma_f64 v[22:23], v[92:93], v[24:25], v[4:5]
	v_fma_f64 v[24:25], v[94:95], v[24:25], -v[26:27]
	v_fma_f64 v[26:27], v[96:97], v[28:29], v[60:61]
	v_fma_f64 v[28:29], v[98:99], v[28:29], -v[30:31]
	;; [unrolled: 2-line block ×4, first 2 shown]
	v_fma_f64 v[4:5], v[62:63], v[40:41], -v[151:152]
	v_fma_f64 v[46:47], v[108:109], v[48:49], v[76:77]
	v_fma_f64 v[48:49], v[110:111], v[48:49], -v[50:51]
	v_lshl_add_u32 v0, v154, 4, v1
	v_add_nc_u32_e32 v1, v1, v153
	v_fma_f64 v[50:51], v[112:113], v[52:53], v[78:79]
	v_fma_f64 v[52:53], v[114:115], v[52:53], -v[54:55]
	v_fma_f64 v[54:55], v[116:117], v[56:57], v[80:81]
	v_fma_f64 v[56:57], v[118:119], v[56:57], -v[58:59]
	;; [unrolled: 2-line block ×4, first 2 shown]
	ds_write_b128 v0, v[64:67]
	ds_write_b128 v1, v[36:39] offset:208
	ds_write_b128 v1, v[68:71] offset:416
	;; [unrolled: 1-line block ×16, first 2 shown]
.LBB0_3:
	s_or_b32 exec_lo, exec_lo, s1
	s_clause 0x1
	s_load_dwordx2 s[2:3], s[4:5], 0x20
	s_load_dwordx2 s[0:1], s[4:5], 0x8
	s_waitcnt lgkmcnt(0)
	s_waitcnt_vscnt null, 0x0
	s_barrier
	buffer_gl0_inv
                                        ; implicit-def: $vgpr16_vgpr17
                                        ; implicit-def: $vgpr40_vgpr41
                                        ; implicit-def: $vgpr48_vgpr49
                                        ; implicit-def: $vgpr52_vgpr53
                                        ; implicit-def: $vgpr56_vgpr57
                                        ; implicit-def: $vgpr64_vgpr65
                                        ; implicit-def: $vgpr68_vgpr69
                                        ; implicit-def: $vgpr72_vgpr73
                                        ; implicit-def: $vgpr76_vgpr77
                                        ; implicit-def: $vgpr80_vgpr81
                                        ; implicit-def: $vgpr60_vgpr61
                                        ; implicit-def: $vgpr44_vgpr45
                                        ; implicit-def: $vgpr36_vgpr37
                                        ; implicit-def: $vgpr32_vgpr33
                                        ; implicit-def: $vgpr28_vgpr29
                                        ; implicit-def: $vgpr24_vgpr25
                                        ; implicit-def: $vgpr20_vgpr21
	s_and_saveexec_b32 s4, vcc_lo
	s_cbranch_execz .LBB0_5
; %bb.4:
	buffer_load_dword v0, off, s[60:63], 0  ; 4-byte Folded Reload
	s_waitcnt vmcnt(0)
	v_lshlrev_b32_e32 v0, 4, v0
	v_lshl_add_u32 v0, v255, 4, v0
	ds_read_b128 v[16:19], v0
	ds_read_b128 v[40:43], v0 offset:208
	ds_read_b128 v[48:51], v0 offset:416
	;; [unrolled: 1-line block ×16, first 2 shown]
.LBB0_5:
	s_or_b32 exec_lo, exec_lo, s4
	s_waitcnt lgkmcnt(0)
	v_add_f64 v[155:156], v[42:43], -v[22:23]
	s_mov_b32 s10, 0x5d8e7cdc
	s_mov_b32 s11, 0xbfd71e95
	v_add_f64 v[90:91], v[50:51], -v[26:27]
	s_mov_b32 s8, 0x2a9d6da3
	s_mov_b32 s9, 0xbfe58eea
	v_add_f64 v[149:150], v[40:41], v[20:21]
	s_mov_b32 s4, 0x370991
	s_mov_b32 s5, 0x3fedd6d0
	v_add_f64 v[84:85], v[48:49], v[24:25]
	s_mov_b32 s6, 0x75d4884
	s_mov_b32 s7, 0x3fe7a5f6
	v_add_f64 v[175:176], v[40:41], -v[20:21]
	v_add_f64 v[86:87], v[48:49], -v[24:25]
	v_add_f64 v[167:168], v[42:43], v[22:23]
	v_add_f64 v[98:99], v[50:51], v[26:27]
	v_add_f64 v[92:93], v[54:55], -v[30:31]
	s_mov_b32 s18, 0x7c9e640b
	s_mov_b32 s19, 0xbfeca52d
	v_add_f64 v[88:89], v[52:53], v[28:29]
	s_mov_b32 s16, 0x2b2883cd
	s_mov_b32 s17, 0x3fdc86fa
	v_mul_f64 v[0:1], v[155:156], s[10:11]
	v_add_f64 v[94:95], v[52:53], -v[28:29]
	v_add_f64 v[106:107], v[54:55], v[30:31]
	v_mul_f64 v[2:3], v[90:91], s[8:9]
	v_add_f64 v[104:105], v[58:59], -v[34:35]
	s_mov_b32 s22, 0xeb564b22
	s_mov_b32 s23, 0xbfefdd0d
	v_add_f64 v[96:97], v[56:57], v[32:33]
	s_mov_b32 s20, 0x3259b75e
	s_mov_b32 s21, 0x3fb79ee6
	v_add_f64 v[100:101], v[56:57], -v[32:33]
	v_add_f64 v[116:117], v[58:59], v[34:35]
	v_add_f64 v[112:113], v[66:67], -v[38:39]
	v_mul_f64 v[4:5], v[86:87], s[8:9]
	s_mov_b32 s30, 0x923c349f
	s_mov_b32 s31, 0x3feec746
	;; [unrolled: 1-line block ×4, first 2 shown]
	v_add_f64 v[102:103], v[64:65], v[36:37]
	s_mov_b32 s24, 0xc61f0d01
	s_mov_b32 s25, 0xbfd183b1
	v_add_f64 v[108:109], v[64:65], -v[36:37]
	buffer_store_dword v0, off, s[60:63], 0 offset:76 ; 4-byte Folded Spill
	buffer_store_dword v1, off, s[60:63], 0 offset:80 ; 4-byte Folded Spill
	;; [unrolled: 1-line block ×4, first 2 shown]
	v_add_f64 v[131:132], v[66:67], v[38:39]
	v_add_f64 v[127:128], v[70:71], -v[46:47]
	s_mov_b32 s42, 0x6c9a05f6
	s_mov_b32 s43, 0xbfe9895b
	v_add_f64 v[110:111], v[68:69], v[44:45]
	v_add_f64 v[114:115], v[68:69], -v[44:45]
	s_mov_b32 s28, 0x6ed5f1bb
	s_mov_b32 s29, 0xbfe348c8
	;; [unrolled: 4-line block ×3, first 2 shown]
	s_mov_b32 s37, 0xbfe0d888
	s_mov_b32 s36, s40
	v_add_f64 v[118:119], v[72:73], v[60:61]
	v_add_f64 v[121:122], v[72:73], -v[60:61]
	s_mov_b32 s34, 0x910ea3b9
	s_mov_b32 s35, 0xbfeb34fa
	v_add_f64 v[141:142], v[74:75], v[62:63]
	v_add_f64 v[137:138], v[78:79], -v[82:83]
	;; [unrolled: 4-line block ×3, first 2 shown]
	s_mov_b32 s38, 0x7faef3
	s_mov_b32 s39, 0xbfef7484
	v_add_f64 v[139:140], v[78:79], v[82:83]
	v_mul_f64 v[171:172], v[114:115], s[42:43]
	v_mul_f64 v[153:154], v[155:156], s[8:9]
	;; [unrolled: 1-line block ×15, first 2 shown]
	s_mov_b32 s49, 0x3feca52d
	s_mov_b32 s48, s18
	;; [unrolled: 1-line block ×3, first 2 shown]
	v_mul_f64 v[181:182], v[125:126], s[44:45]
	v_mul_f64 v[197:198], v[133:134], s[48:49]
	;; [unrolled: 1-line block ×3, first 2 shown]
	s_mov_b32 s46, s10
	v_mul_f64 v[159:160], v[155:156], s[18:19]
	v_mul_f64 v[199:200], v[137:138], s[46:47]
	v_fma_f64 v[6:7], v[84:85], s[20:21], v[179:180]
	v_mul_f64 v[215:216], v[125:126], s[46:47]
	v_fma_f64 v[8:9], v[98:99], s[20:21], -v[185:186]
	v_mul_f64 v[187:188], v[90:91], s[42:43]
	v_mul_f64 v[161:162], v[175:176], s[18:19]
	;; [unrolled: 1-line block ×3, first 2 shown]
	s_mov_b32 s51, 0x3fc7851a
	s_mov_b32 s50, s44
	v_mul_f64 v[205:206], v[104:105], s[30:31]
	v_mul_f64 v[201:202], v[92:93], s[50:51]
	;; [unrolled: 1-line block ×4, first 2 shown]
	s_mov_b32 s53, 0x3fe58eea
	s_mov_b32 s52, s8
	v_mul_f64 v[221:222], v[127:128], s[10:11]
	v_mul_f64 v[219:220], v[112:113], s[52:53]
	;; [unrolled: 1-line block ×11, first 2 shown]
	v_fma_f64 v[10:11], v[84:85], s[28:29], v[187:188]
	v_mul_f64 v[243:244], v[86:87], s[44:45]
	v_fma_f64 v[12:13], v[98:99], s[28:29], -v[217:218]
	v_mul_f64 v[227:228], v[92:93], s[30:31]
	v_mul_f64 v[253:254], v[94:95], s[30:31]
	;; [unrolled: 1-line block ×6, first 2 shown]
	s_mov_b32 s55, 0x3fe9895b
	s_mov_b32 s54, s42
	v_mul_f64 v[249:250], v[137:138], s[52:53]
	v_mul_f64 v[247:248], v[133:134], s[54:55]
	v_fma_f64 v[14:15], v[84:85], s[38:39], v[213:214]
	v_fma_f64 v[129:130], v[98:99], s[38:39], -v[243:244]
	v_fma_f64 v[0:1], v[149:150], s[4:5], v[0:1]
	v_fma_f64 v[2:3], v[84:85], s[6:7], v[2:3]
	v_add_f64 v[0:1], v[16:17], v[0:1]
	v_add_f64 v[0:1], v[2:3], v[0:1]
	v_mul_f64 v[2:3], v[175:176], s[10:11]
	buffer_store_dword v2, off, s[60:63], 0 offset:164 ; 4-byte Folded Spill
	buffer_store_dword v3, off, s[60:63], 0 offset:168 ; 4-byte Folded Spill
	;; [unrolled: 1-line block ×4, first 2 shown]
	v_fma_f64 v[2:3], v[167:168], s[4:5], -v[2:3]
	v_fma_f64 v[4:5], v[98:99], s[6:7], -v[4:5]
	v_add_f64 v[2:3], v[18:19], v[2:3]
	v_add_f64 v[2:3], v[4:5], v[2:3]
	v_mul_f64 v[4:5], v[92:93], s[18:19]
	buffer_store_dword v4, off, s[60:63], 0 offset:40 ; 4-byte Folded Spill
	buffer_store_dword v5, off, s[60:63], 0 offset:44 ; 4-byte Folded Spill
	v_fma_f64 v[4:5], v[88:89], s[16:17], v[4:5]
	v_add_f64 v[0:1], v[4:5], v[0:1]
	v_mul_f64 v[4:5], v[94:95], s[18:19]
	buffer_store_dword v4, off, s[60:63], 0 offset:60 ; 4-byte Folded Spill
	buffer_store_dword v5, off, s[60:63], 0 offset:64 ; 4-byte Folded Spill
	v_fma_f64 v[4:5], v[106:107], s[16:17], -v[4:5]
	v_add_f64 v[2:3], v[4:5], v[2:3]
	v_mul_f64 v[4:5], v[104:105], s[22:23]
	buffer_store_dword v4, off, s[60:63], 0 offset:92 ; 4-byte Folded Spill
	buffer_store_dword v5, off, s[60:63], 0 offset:96 ; 4-byte Folded Spill
	v_fma_f64 v[4:5], v[96:97], s[20:21], v[4:5]
	v_add_f64 v[0:1], v[4:5], v[0:1]
	v_mul_f64 v[4:5], v[100:101], s[22:23]
	buffer_store_dword v4, off, s[60:63], 0 offset:108 ; 4-byte Folded Spill
	buffer_store_dword v5, off, s[60:63], 0 offset:112 ; 4-byte Folded Spill
	v_fma_f64 v[4:5], v[116:117], s[20:21], -v[4:5]
	;; [unrolled: 10-line block ×3, first 2 shown]
	v_add_f64 v[2:3], v[4:5], v[2:3]
	v_mul_f64 v[4:5], v[127:128], s[42:43]
	buffer_store_dword v4, off, s[60:63], 0 offset:140 ; 4-byte Folded Spill
	buffer_store_dword v5, off, s[60:63], 0 offset:144 ; 4-byte Folded Spill
	v_fma_f64 v[4:5], v[110:111], s[28:29], v[4:5]
	v_add_f64 v[0:1], v[4:5], v[0:1]
	v_fma_f64 v[4:5], v[135:136], s[28:29], -v[171:172]
	v_add_f64 v[2:3], v[4:5], v[2:3]
	v_mul_f64 v[4:5], v[133:134], s[36:37]
	buffer_store_dword v4, off, s[60:63], 0 offset:156 ; 4-byte Folded Spill
	buffer_store_dword v5, off, s[60:63], 0 offset:160 ; 4-byte Folded Spill
	s_waitcnt_vscnt null, 0x0
	s_barrier
	buffer_gl0_inv
	v_fma_f64 v[4:5], v[118:119], s[34:35], v[4:5]
	v_add_f64 v[0:1], v[4:5], v[0:1]
	v_fma_f64 v[4:5], v[141:142], s[34:35], -v[177:178]
	v_add_f64 v[2:3], v[4:5], v[2:3]
	v_fma_f64 v[4:5], v[123:124], s[38:39], v[173:174]
	v_add_f64 v[0:1], v[4:5], v[0:1]
	v_fma_f64 v[4:5], v[139:140], s[38:39], -v[181:182]
	v_add_f64 v[2:3], v[4:5], v[2:3]
	v_fma_f64 v[4:5], v[149:150], s[6:7], v[153:154]
	v_add_f64 v[4:5], v[16:17], v[4:5]
	v_add_f64 v[4:5], v[6:7], v[4:5]
	v_fma_f64 v[6:7], v[167:168], s[6:7], -v[157:158]
	v_add_f64 v[6:7], v[18:19], v[6:7]
	v_add_f64 v[6:7], v[8:9], v[6:7]
	v_fma_f64 v[8:9], v[88:89], s[28:29], v[183:184]
	v_add_f64 v[4:5], v[8:9], v[4:5]
	v_fma_f64 v[8:9], v[106:107], s[28:29], -v[191:192]
	v_add_f64 v[6:7], v[8:9], v[6:7]
	v_fma_f64 v[8:9], v[96:97], s[38:39], v[189:190]
	v_add_f64 v[4:5], v[8:9], v[4:5]
	v_fma_f64 v[8:9], v[116:117], s[38:39], -v[203:204]
	;; [unrolled: 4-line block ×6, first 2 shown]
	v_add_f64 v[6:7], v[8:9], v[6:7]
	v_fma_f64 v[8:9], v[149:150], s[16:17], v[159:160]
	v_add_f64 v[8:9], v[16:17], v[8:9]
	v_add_f64 v[8:9], v[10:11], v[8:9]
	v_fma_f64 v[10:11], v[167:168], s[16:17], -v[161:162]
	v_add_f64 v[10:11], v[18:19], v[10:11]
	v_add_f64 v[10:11], v[12:13], v[10:11]
	v_fma_f64 v[12:13], v[88:89], s[38:39], v[201:202]
	v_add_f64 v[8:9], v[12:13], v[8:9]
	v_fma_f64 v[12:13], v[106:107], s[38:39], -v[229:230]
	v_add_f64 v[10:11], v[12:13], v[10:11]
	v_fma_f64 v[12:13], v[96:97], s[24:25], v[205:206]
	v_add_f64 v[8:9], v[12:13], v[8:9]
	v_fma_f64 v[12:13], v[116:117], s[24:25], -v[245:246]
	v_add_f64 v[10:11], v[12:13], v[10:11]
	v_fma_f64 v[12:13], v[102:103], s[6:7], v[219:220]
	v_add_f64 v[8:9], v[12:13], v[8:9]
	v_fma_f64 v[12:13], v[131:132], s[6:7], -v[251:252]
	v_add_f64 v[10:11], v[12:13], v[10:11]
	v_fma_f64 v[12:13], v[110:111], s[4:5], v[221:222]
	v_add_f64 v[8:9], v[12:13], v[8:9]
	v_fma_f64 v[12:13], v[135:136], s[4:5], -v[231:232]
	v_add_f64 v[10:11], v[12:13], v[10:11]
	v_fma_f64 v[12:13], v[118:119], s[20:21], v[223:224]
	v_add_f64 v[8:9], v[12:13], v[8:9]
	v_fma_f64 v[12:13], v[141:142], s[20:21], -v[233:234]
	v_add_f64 v[10:11], v[12:13], v[10:11]
	v_fma_f64 v[12:13], v[123:124], s[34:35], v[225:226]
	v_add_f64 v[8:9], v[12:13], v[8:9]
	v_fma_f64 v[12:13], v[139:140], s[34:35], -v[241:242]
	v_add_f64 v[10:11], v[12:13], v[10:11]
	v_fma_f64 v[12:13], v[149:150], s[20:21], v[163:164]
	v_add_f64 v[12:13], v[16:17], v[12:13]
	v_add_f64 v[12:13], v[14:15], v[12:13]
	v_fma_f64 v[14:15], v[167:168], s[20:21], -v[165:166]
	v_add_f64 v[14:15], v[18:19], v[14:15]
	v_add_f64 v[14:15], v[129:130], v[14:15]
	v_fma_f64 v[129:130], v[88:89], s[24:25], v[227:228]
	v_add_f64 v[12:13], v[129:130], v[12:13]
	v_fma_f64 v[129:130], v[106:107], s[24:25], -v[253:254]
	v_add_f64 v[14:15], v[129:130], v[14:15]
	v_fma_f64 v[129:130], v[96:97], s[4:5], v[235:236]
	v_add_f64 v[12:13], v[129:130], v[12:13]
	v_fma_f64 v[129:130], v[116:117], s[4:5], -v[151:152]
	v_add_f64 v[14:15], v[129:130], v[14:15]
	v_fma_f64 v[129:130], v[102:103], s[16:17], v[237:238]
	v_add_f64 v[12:13], v[129:130], v[12:13]
	v_mul_f64 v[129:130], v[108:109], s[18:19]
	v_fma_f64 v[143:144], v[131:132], s[16:17], -v[129:130]
	v_add_f64 v[14:15], v[143:144], v[14:15]
	v_fma_f64 v[143:144], v[110:111], s[34:35], v[239:240]
	v_add_f64 v[12:13], v[143:144], v[12:13]
	v_mul_f64 v[143:144], v[114:115], s[36:37]
	;; [unrolled: 5-line block ×4, first 2 shown]
	v_fma_f64 v[169:170], v[139:140], s[6:7], -v[147:148]
	v_add_f64 v[14:15], v[169:170], v[14:15]
	s_and_saveexec_b32 s33, vcc_lo
	s_cbranch_execz .LBB0_7
; %bb.6:
	v_add_f64 v[40:41], v[16:17], v[40:41]
	v_add_f64 v[42:43], v[18:19], v[42:43]
	s_mov_b32 s57, 0x3fefdd0d
	s_mov_b32 s56, s22
	v_add_f64 v[40:41], v[40:41], v[48:49]
	v_add_f64 v[42:43], v[42:43], v[50:51]
	v_mul_f64 v[50:51], v[149:150], s[6:7]
	v_mul_f64 v[48:49], v[167:168], s[6:7]
	v_add_f64 v[40:41], v[40:41], v[52:53]
	v_add_f64 v[42:43], v[42:43], v[54:55]
	s_clause 0x1
	buffer_load_dword v54, off, s[60:63], 0 offset:164
	buffer_load_dword v55, off, s[60:63], 0 offset:168
	v_mul_f64 v[52:53], v[167:168], s[4:5]
	v_add_f64 v[50:51], v[50:51], -v[153:154]
	v_add_f64 v[48:49], v[157:158], v[48:49]
	v_add_f64 v[40:41], v[40:41], v[56:57]
	;; [unrolled: 1-line block ×3, first 2 shown]
	v_mul_f64 v[56:57], v[155:156], s[36:37]
	v_mul_f64 v[58:59], v[155:156], s[42:43]
	v_add_f64 v[40:41], v[40:41], v[64:65]
	v_add_f64 v[42:43], v[42:43], v[66:67]
	v_fma_f64 v[64:65], v[149:150], s[34:35], v[56:57]
	v_fma_f64 v[56:57], v[149:150], s[34:35], -v[56:57]
	v_fma_f64 v[66:67], v[149:150], s[28:29], v[58:59]
	v_fma_f64 v[58:59], v[149:150], s[28:29], -v[58:59]
	v_add_f64 v[40:41], v[40:41], v[68:69]
	v_add_f64 v[42:43], v[42:43], v[70:71]
	v_mul_f64 v[70:71], v[149:150], s[4:5]
	v_add_f64 v[64:65], v[16:17], v[64:65]
	v_add_f64 v[56:57], v[16:17], v[56:57]
	;; [unrolled: 1-line block ×5, first 2 shown]
	s_clause 0x1
	buffer_load_dword v72, off, s[60:63], 0 offset:76
	buffer_load_dword v73, off, s[60:63], 0 offset:80
	v_add_f64 v[42:43], v[42:43], v[74:75]
	v_add_f64 v[40:41], v[40:41], v[76:77]
	;; [unrolled: 1-line block ×6, first 2 shown]
	v_mul_f64 v[60:61], v[155:156], s[26:27]
	v_add_f64 v[42:43], v[42:43], v[62:63]
	v_add_f64 v[40:41], v[40:41], v[44:45]
	v_fma_f64 v[68:69], v[149:150], s[24:25], v[60:61]
	v_add_f64 v[42:43], v[42:43], v[46:47]
	v_mul_f64 v[46:47], v[149:150], s[16:17]
	v_fma_f64 v[60:61], v[149:150], s[24:25], -v[60:61]
	v_mul_f64 v[44:45], v[167:168], s[16:17]
	v_add_f64 v[36:37], v[40:41], v[36:37]
	v_mul_f64 v[40:41], v[167:168], s[20:21]
	v_add_f64 v[38:39], v[42:43], v[38:39]
	v_mul_f64 v[42:43], v[149:150], s[20:21]
	v_add_f64 v[46:47], v[46:47], -v[159:160]
	v_add_f64 v[68:69], v[16:17], v[68:69]
	v_add_f64 v[60:61], v[16:17], v[60:61]
	;; [unrolled: 1-line block ×3, first 2 shown]
	v_mul_f64 v[161:162], v[139:140], s[20:21]
	v_add_f64 v[32:33], v[36:37], v[32:33]
	v_mul_f64 v[36:37], v[167:168], s[24:25]
	v_add_f64 v[34:35], v[38:39], v[34:35]
	v_add_f64 v[42:43], v[42:43], -v[163:164]
	v_add_f64 v[46:47], v[16:17], v[46:47]
	v_add_f64 v[40:41], v[165:166], v[40:41]
	v_mul_f64 v[163:164], v[137:138], s[56:57]
	v_add_f64 v[44:45], v[18:19], v[44:45]
	v_add_f64 v[28:29], v[32:33], v[28:29]
	v_mul_f64 v[32:33], v[167:168], s[28:29]
	v_add_f64 v[30:31], v[34:35], v[30:31]
	v_fma_f64 v[38:39], v[175:176], s[30:31], v[36:37]
	v_fma_f64 v[36:37], v[175:176], s[26:27], v[36:37]
	v_add_f64 v[82:83], v[18:19], v[40:41]
	v_add_f64 v[40:41], v[18:19], v[48:49]
	;; [unrolled: 1-line block ×3, first 2 shown]
	v_mul_f64 v[28:29], v[167:168], s[34:35]
	v_add_f64 v[26:27], v[30:31], v[26:27]
	v_fma_f64 v[34:35], v[175:176], s[54:55], v[32:33]
	v_fma_f64 v[32:33], v[175:176], s[42:43], v[32:33]
	v_add_f64 v[78:79], v[18:19], v[38:39]
	v_add_f64 v[80:81], v[18:19], v[36:37]
	;; [unrolled: 1-line block ×3, first 2 shown]
	v_mul_f64 v[24:25], v[167:168], s[38:39]
	v_fma_f64 v[30:31], v[175:176], s[40:41], v[28:29]
	v_fma_f64 v[28:29], v[175:176], s[36:37], v[28:29]
	v_add_f64 v[22:23], v[26:27], v[22:23]
	v_add_f64 v[76:77], v[18:19], v[32:33]
	v_mul_f64 v[32:33], v[106:107], s[34:35]
	v_add_f64 v[74:75], v[18:19], v[34:35]
	v_fma_f64 v[26:27], v[175:176], s[50:51], v[24:25]
	v_fma_f64 v[24:25], v[175:176], s[44:45], v[24:25]
	v_add_f64 v[30:31], v[18:19], v[30:31]
	v_fma_f64 v[34:35], v[94:95], s[40:41], v[32:33]
	s_waitcnt vmcnt(2)
	v_add_f64 v[52:53], v[54:55], v[52:53]
	v_mul_f64 v[54:55], v[155:156], s[44:45]
	v_add_f64 v[26:27], v[18:19], v[26:27]
	v_add_f64 v[24:25], v[18:19], v[24:25]
	v_add_f64 v[36:37], v[18:19], v[52:53]
	v_fma_f64 v[62:63], v[149:150], s[38:39], v[54:55]
	v_fma_f64 v[54:55], v[149:150], s[38:39], -v[54:55]
	v_add_f64 v[149:150], v[16:17], v[42:43]
	v_add_f64 v[42:43], v[16:17], v[50:51]
	;; [unrolled: 1-line block ×4, first 2 shown]
	s_waitcnt vmcnt(0)
	v_add_f64 v[70:71], v[70:71], -v[72:73]
	v_add_f64 v[72:73], v[18:19], v[28:29]
	v_mul_f64 v[28:29], v[98:99], s[4:5]
	v_add_f64 v[38:39], v[16:17], v[70:71]
	v_fma_f64 v[16:17], v[86:87], s[10:11], v[28:29]
	v_fma_f64 v[28:29], v[86:87], s[46:47], v[28:29]
	v_add_f64 v[16:17], v[16:17], v[26:27]
	v_mul_f64 v[26:27], v[90:91], s[46:47]
	v_add_f64 v[24:25], v[28:29], v[24:25]
	v_fma_f64 v[28:29], v[94:95], s[36:37], v[32:33]
	v_fma_f64 v[32:33], v[123:124], s[20:21], -v[163:164]
	v_add_f64 v[16:17], v[34:35], v[16:17]
	v_fma_f64 v[18:19], v[84:85], s[4:5], v[26:27]
	v_mul_f64 v[34:35], v[92:93], s[36:37]
	v_fma_f64 v[26:27], v[84:85], s[4:5], -v[26:27]
	v_add_f64 v[24:25], v[28:29], v[24:25]
	v_add_f64 v[18:19], v[18:19], v[62:63]
	v_fma_f64 v[48:49], v[88:89], s[34:35], v[34:35]
	v_add_f64 v[26:27], v[26:27], v[54:55]
	v_fma_f64 v[28:29], v[88:89], s[34:35], -v[34:35]
	v_mul_f64 v[34:35], v[90:91], s[48:49]
	v_add_f64 v[18:19], v[48:49], v[18:19]
	v_mul_f64 v[48:49], v[116:117], s[6:7]
	v_add_f64 v[26:27], v[28:29], v[26:27]
	v_fma_f64 v[50:51], v[100:101], s[8:9], v[48:49]
	v_fma_f64 v[28:29], v[100:101], s[52:53], v[48:49]
	v_mul_f64 v[48:49], v[106:107], s[20:21]
	v_add_f64 v[16:17], v[50:51], v[16:17]
	v_mul_f64 v[50:51], v[104:105], s[52:53]
	v_add_f64 v[24:25], v[28:29], v[24:25]
	v_fma_f64 v[52:53], v[96:97], s[6:7], v[50:51]
	v_fma_f64 v[28:29], v[96:97], s[6:7], -v[50:51]
	v_fma_f64 v[50:51], v[94:95], s[56:57], v[48:49]
	v_fma_f64 v[48:49], v[94:95], s[22:23], v[48:49]
	v_add_f64 v[18:19], v[52:53], v[18:19]
	v_mul_f64 v[52:53], v[131:132], s[28:29]
	v_add_f64 v[26:27], v[28:29], v[26:27]
	v_fma_f64 v[62:63], v[108:109], s[54:55], v[52:53]
	v_fma_f64 v[28:29], v[108:109], s[42:43], v[52:53]
	v_add_f64 v[16:17], v[62:63], v[16:17]
	v_mul_f64 v[62:63], v[112:113], s[42:43]
	v_add_f64 v[24:25], v[28:29], v[24:25]
	v_fma_f64 v[70:71], v[102:103], s[28:29], v[62:63]
	v_fma_f64 v[28:29], v[102:103], s[28:29], -v[62:63]
	v_add_f64 v[18:19], v[70:71], v[18:19]
	v_mul_f64 v[70:71], v[135:136], s[16:17]
	v_add_f64 v[26:27], v[28:29], v[26:27]
	v_fma_f64 v[153:154], v[114:115], s[18:19], v[70:71]
	v_fma_f64 v[28:29], v[114:115], s[48:49], v[70:71]
	v_add_f64 v[16:17], v[153:154], v[16:17]
	v_mul_f64 v[153:154], v[127:128], s[48:49]
	v_add_f64 v[24:25], v[28:29], v[24:25]
	v_fma_f64 v[155:156], v[110:111], s[16:17], v[153:154]
	v_fma_f64 v[28:29], v[110:111], s[16:17], -v[153:154]
	v_add_f64 v[18:19], v[155:156], v[18:19]
	v_mul_f64 v[155:156], v[141:142], s[24:25]
	v_add_f64 v[26:27], v[28:29], v[26:27]
	v_fma_f64 v[157:158], v[121:122], s[30:31], v[155:156]
	v_fma_f64 v[28:29], v[121:122], s[26:27], v[155:156]
	v_add_f64 v[16:17], v[157:158], v[16:17]
	v_mul_f64 v[157:158], v[133:134], s[26:27]
	v_add_f64 v[24:25], v[28:29], v[24:25]
	v_fma_f64 v[28:29], v[118:119], s[24:25], -v[157:158]
	v_fma_f64 v[159:160], v[118:119], s[24:25], v[157:158]
	v_add_f64 v[28:29], v[28:29], v[26:27]
	v_fma_f64 v[26:27], v[125:126], s[56:57], v[161:162]
	v_add_f64 v[159:160], v[159:160], v[18:19]
	v_fma_f64 v[18:19], v[125:126], s[22:23], v[161:162]
	v_mul_f64 v[161:162], v[139:140], s[24:25]
	v_add_f64 v[26:27], v[26:27], v[24:25]
	v_add_f64 v[24:25], v[32:33], v[28:29]
	v_mul_f64 v[32:33], v[98:99], s[16:17]
	v_add_f64 v[18:19], v[18:19], v[16:17]
	v_fma_f64 v[16:17], v[123:124], s[20:21], v[163:164]
	v_mul_f64 v[163:164], v[137:138], s[26:27]
	v_fma_f64 v[28:29], v[86:87], s[18:19], v[32:33]
	v_fma_f64 v[32:33], v[86:87], s[48:49], v[32:33]
	v_add_f64 v[16:17], v[16:17], v[159:160]
	v_add_f64 v[28:29], v[28:29], v[30:31]
	v_fma_f64 v[30:31], v[84:85], s[16:17], v[34:35]
	v_add_f64 v[32:33], v[32:33], v[72:73]
	v_fma_f64 v[34:35], v[84:85], s[16:17], -v[34:35]
	v_add_f64 v[28:29], v[50:51], v[28:29]
	v_mul_f64 v[50:51], v[92:93], s[22:23]
	v_add_f64 v[30:31], v[30:31], v[64:65]
	v_add_f64 v[34:35], v[34:35], v[56:57]
	;; [unrolled: 1-line block ×3, first 2 shown]
	v_fma_f64 v[52:53], v[88:89], s[20:21], v[50:51]
	v_fma_f64 v[48:49], v[88:89], s[20:21], -v[50:51]
	v_fma_f64 v[50:51], v[123:124], s[24:25], -v[163:164]
	v_add_f64 v[30:31], v[52:53], v[30:31]
	v_mul_f64 v[52:53], v[116:117], s[28:29]
	v_add_f64 v[34:35], v[48:49], v[34:35]
	v_fma_f64 v[54:55], v[100:101], s[42:43], v[52:53]
	v_fma_f64 v[48:49], v[100:101], s[54:55], v[52:53]
	v_add_f64 v[28:29], v[54:55], v[28:29]
	v_mul_f64 v[54:55], v[104:105], s[54:55]
	v_add_f64 v[32:33], v[48:49], v[32:33]
	v_fma_f64 v[62:63], v[96:97], s[28:29], v[54:55]
	v_fma_f64 v[48:49], v[96:97], s[28:29], -v[54:55]
	v_add_f64 v[30:31], v[62:63], v[30:31]
	v_mul_f64 v[62:63], v[131:132], s[4:5]
	v_add_f64 v[34:35], v[48:49], v[34:35]
	v_fma_f64 v[64:65], v[108:109], s[46:47], v[62:63]
	v_fma_f64 v[48:49], v[108:109], s[10:11], v[62:63]
	v_add_f64 v[28:29], v[64:65], v[28:29]
	v_mul_f64 v[64:65], v[112:113], s[10:11]
	v_add_f64 v[32:33], v[48:49], v[32:33]
	v_fma_f64 v[70:71], v[102:103], s[4:5], v[64:65]
	;; [unrolled: 10-line block ×3, first 2 shown]
	v_fma_f64 v[48:49], v[110:111], s[38:39], -v[153:154]
	v_mul_f64 v[153:154], v[133:134], s[10:11]
	v_add_f64 v[30:31], v[155:156], v[30:31]
	v_mul_f64 v[155:156], v[141:142], s[6:7]
	v_add_f64 v[34:35], v[48:49], v[34:35]
	v_fma_f64 v[157:158], v[121:122], s[8:9], v[155:156]
	v_fma_f64 v[48:49], v[121:122], s[52:53], v[155:156]
	v_mul_f64 v[155:156], v[139:140], s[28:29]
	v_add_f64 v[28:29], v[157:158], v[28:29]
	v_mul_f64 v[157:158], v[133:134], s[52:53]
	v_add_f64 v[32:33], v[48:49], v[32:33]
	v_fma_f64 v[48:49], v[118:119], s[6:7], -v[157:158]
	v_fma_f64 v[159:160], v[118:119], s[6:7], v[157:158]
	v_mul_f64 v[157:158], v[137:138], s[42:43]
	v_mul_f64 v[137:138], v[137:138], s[48:49]
	v_add_f64 v[48:49], v[48:49], v[34:35]
	v_fma_f64 v[34:35], v[125:126], s[26:27], v[161:162]
	v_add_f64 v[159:160], v[159:160], v[30:31]
	v_fma_f64 v[30:31], v[125:126], s[30:31], v[161:162]
	v_add_f64 v[34:35], v[34:35], v[32:33]
	v_add_f64 v[32:33], v[50:51], v[48:49]
	s_clause 0x7
	buffer_load_dword v50, off, s[60:63], 0 offset:24
	buffer_load_dword v51, off, s[60:63], 0 offset:28
	;; [unrolled: 1-line block ×8, first 2 shown]
	v_mul_f64 v[48:49], v[98:99], s[6:7]
	s_clause 0x7
	buffer_load_dword v62, off, s[60:63], 0 offset:108
	buffer_load_dword v63, off, s[60:63], 0 offset:112
	;; [unrolled: 1-line block ×8, first 2 shown]
	v_add_f64 v[30:31], v[30:31], v[28:29]
	v_fma_f64 v[28:29], v[123:124], s[24:25], v[163:164]
	v_add_f64 v[28:29], v[28:29], v[159:160]
	s_waitcnt vmcnt(14)
	v_add_f64 v[48:49], v[50:51], v[48:49]
	v_mul_f64 v[50:51], v[84:85], s[6:7]
	v_add_f64 v[36:37], v[48:49], v[36:37]
	s_waitcnt vmcnt(12)
	v_add_f64 v[50:51], v[50:51], -v[52:53]
	v_mul_f64 v[52:53], v[106:107], s[16:17]
	v_mul_f64 v[48:49], v[110:111], s[28:29]
	v_add_f64 v[38:39], v[50:51], v[38:39]
	s_waitcnt vmcnt(10)
	v_add_f64 v[52:53], v[54:55], v[52:53]
	v_mul_f64 v[54:55], v[88:89], s[16:17]
	s_clause 0x1
	buffer_load_dword v50, off, s[60:63], 0 offset:140
	buffer_load_dword v51, off, s[60:63], 0 offset:144
	v_add_f64 v[36:37], v[52:53], v[36:37]
	s_waitcnt vmcnt(10)
	v_add_f64 v[54:55], v[54:55], -v[56:57]
	v_mul_f64 v[56:57], v[116:117], s[20:21]
	v_mul_f64 v[52:53], v[118:119], s[34:35]
	v_add_f64 v[38:39], v[54:55], v[38:39]
	s_clause 0x1
	buffer_load_dword v54, off, s[60:63], 0 offset:156
	buffer_load_dword v55, off, s[60:63], 0 offset:160
	s_waitcnt vmcnt(10)
	v_add_f64 v[56:57], v[62:63], v[56:57]
	v_mul_f64 v[62:63], v[96:97], s[20:21]
	v_add_f64 v[36:37], v[56:57], v[36:37]
	s_waitcnt vmcnt(8)
	v_add_f64 v[62:63], v[62:63], -v[64:65]
	v_mul_f64 v[64:65], v[131:132], s[24:25]
	v_mul_f64 v[56:57], v[116:117], s[38:39]
	v_add_f64 v[38:39], v[62:63], v[38:39]
	s_waitcnt vmcnt(6)
	v_add_f64 v[64:65], v[70:71], v[64:65]
	v_mul_f64 v[70:71], v[102:103], s[24:25]
	v_mul_f64 v[62:63], v[96:97], s[38:39]
	v_add_f64 v[56:57], v[203:204], v[56:57]
	v_add_f64 v[36:37], v[64:65], v[36:37]
	s_waitcnt vmcnt(4)
	v_add_f64 v[70:71], v[70:71], -v[72:73]
	v_mul_f64 v[72:73], v[135:136], s[28:29]
	v_add_f64 v[62:63], v[62:63], -v[189:190]
	v_mul_f64 v[64:65], v[131:132], s[34:35]
	v_add_f64 v[38:39], v[70:71], v[38:39]
	v_add_f64 v[72:73], v[171:172], v[72:73]
	v_mul_f64 v[70:71], v[102:103], s[34:35]
	v_add_f64 v[64:65], v[207:208], v[64:65]
	v_add_f64 v[36:37], v[72:73], v[36:37]
	v_add_f64 v[70:71], v[70:71], -v[193:194]
	v_mul_f64 v[72:73], v[135:136], s[24:25]
	v_add_f64 v[72:73], v[209:210], v[72:73]
	s_waitcnt vmcnt(2)
	v_add_f64 v[48:49], v[48:49], -v[50:51]
	v_mul_f64 v[50:51], v[141:142], s[34:35]
	v_add_f64 v[38:39], v[48:49], v[38:39]
	v_add_f64 v[50:51], v[177:178], v[50:51]
	v_mul_f64 v[48:49], v[123:124], s[38:39]
	s_waitcnt vmcnt(0)
	v_add_f64 v[52:53], v[52:53], -v[54:55]
	v_mul_f64 v[54:55], v[139:140], s[38:39]
	v_add_f64 v[48:49], v[48:49], -v[173:174]
	v_add_f64 v[36:37], v[50:51], v[36:37]
	v_add_f64 v[50:51], v[52:53], v[38:39]
	;; [unrolled: 1-line block ×3, first 2 shown]
	v_mul_f64 v[52:53], v[106:107], s[28:29]
	v_add_f64 v[38:39], v[54:55], v[36:37]
	v_add_f64 v[36:37], v[48:49], v[50:51]
	v_mul_f64 v[48:49], v[98:99], s[20:21]
	v_mul_f64 v[50:51], v[84:85], s[20:21]
	;; [unrolled: 1-line block ×3, first 2 shown]
	v_add_f64 v[52:53], v[191:192], v[52:53]
	v_add_f64 v[48:49], v[185:186], v[48:49]
	v_add_f64 v[50:51], v[50:51], -v[179:180]
	v_add_f64 v[54:55], v[54:55], -v[183:184]
	v_add_f64 v[40:41], v[48:49], v[40:41]
	v_add_f64 v[42:43], v[50:51], v[42:43]
	v_mul_f64 v[48:49], v[110:111], s[24:25]
	v_mul_f64 v[50:51], v[141:142], s[16:17]
	v_add_f64 v[40:41], v[52:53], v[40:41]
	v_add_f64 v[42:43], v[54:55], v[42:43]
	v_add_f64 v[48:49], v[48:49], -v[195:196]
	v_mul_f64 v[52:53], v[118:119], s[16:17]
	v_add_f64 v[50:51], v[211:212], v[50:51]
	v_mul_f64 v[54:55], v[139:140], s[4:5]
	v_add_f64 v[40:41], v[56:57], v[40:41]
	v_add_f64 v[42:43], v[62:63], v[42:43]
	v_mul_f64 v[56:57], v[88:89], s[24:25]
	v_add_f64 v[52:53], v[52:53], -v[197:198]
	v_mul_f64 v[62:63], v[106:107], s[4:5]
	v_add_f64 v[54:55], v[215:216], v[54:55]
	v_add_f64 v[40:41], v[64:65], v[40:41]
	;; [unrolled: 1-line block ×3, first 2 shown]
	v_add_f64 v[56:57], v[56:57], -v[227:228]
	v_mul_f64 v[64:65], v[98:99], s[34:35]
	v_mul_f64 v[70:71], v[106:107], s[6:7]
	v_add_f64 v[40:41], v[72:73], v[40:41]
	v_add_f64 v[42:43], v[48:49], v[42:43]
	v_mul_f64 v[48:49], v[123:124], s[4:5]
	v_mul_f64 v[72:73], v[90:91], s[40:41]
	;; [unrolled: 1-line block ×3, first 2 shown]
	v_add_f64 v[40:41], v[50:51], v[40:41]
	v_add_f64 v[50:51], v[52:53], v[42:43]
	v_add_f64 v[48:49], v[48:49], -v[199:200]
	v_mul_f64 v[52:53], v[131:132], s[6:7]
	v_add_f64 v[42:43], v[54:55], v[40:41]
	v_mul_f64 v[54:55], v[84:85], s[38:39]
	v_add_f64 v[40:41], v[48:49], v[50:51]
	v_mul_f64 v[48:49], v[98:99], s[28:29]
	v_mul_f64 v[50:51], v[106:107], s[38:39]
	v_add_f64 v[52:53], v[251:252], v[52:53]
	v_add_f64 v[54:55], v[54:55], -v[213:214]
	v_add_f64 v[48:49], v[217:218], v[48:49]
	v_add_f64 v[50:51], v[229:230], v[50:51]
	;; [unrolled: 1-line block ×3, first 2 shown]
	v_mul_f64 v[149:150], v[127:128], s[56:57]
	v_add_f64 v[44:45], v[48:49], v[44:45]
	v_mul_f64 v[48:49], v[116:117], s[24:25]
	v_mul_f64 v[127:128], v[127:128], s[8:9]
	v_add_f64 v[54:55], v[56:57], v[54:55]
	v_mul_f64 v[56:57], v[131:132], s[16:17]
	v_add_f64 v[44:45], v[50:51], v[44:45]
	v_add_f64 v[48:49], v[245:246], v[48:49]
	v_mul_f64 v[50:51], v[84:85], s[28:29]
	v_add_f64 v[56:57], v[129:130], v[56:57]
	v_mul_f64 v[129:130], v[104:105], s[18:19]
	v_add_f64 v[44:45], v[48:49], v[44:45]
	v_add_f64 v[50:51], v[50:51], -v[187:188]
	v_mul_f64 v[48:49], v[88:89], s[38:39]
	v_mul_f64 v[104:105], v[104:105], s[36:37]
	v_add_f64 v[44:45], v[52:53], v[44:45]
	v_add_f64 v[46:47], v[50:51], v[46:47]
	v_add_f64 v[48:49], v[48:49], -v[201:202]
	v_mul_f64 v[50:51], v[96:97], s[24:25]
	v_mul_f64 v[52:53], v[110:111], s[4:5]
	v_add_f64 v[46:47], v[48:49], v[46:47]
	v_add_f64 v[50:51], v[50:51], -v[205:206]
	v_mul_f64 v[48:49], v[102:103], s[6:7]
	v_add_f64 v[52:53], v[52:53], -v[221:222]
	v_add_f64 v[46:47], v[50:51], v[46:47]
	v_add_f64 v[48:49], v[48:49], -v[219:220]
	v_mul_f64 v[50:51], v[135:136], s[4:5]
	v_add_f64 v[46:47], v[48:49], v[46:47]
	v_add_f64 v[50:51], v[231:232], v[50:51]
	v_mul_f64 v[48:49], v[141:142], s[20:21]
	v_add_f64 v[46:47], v[52:53], v[46:47]
	v_add_f64 v[44:45], v[50:51], v[44:45]
	;; [unrolled: 1-line block ×3, first 2 shown]
	v_mul_f64 v[50:51], v[118:119], s[20:21]
	v_mul_f64 v[52:53], v[139:140], s[34:35]
	v_add_f64 v[44:45], v[48:49], v[44:45]
	v_add_f64 v[50:51], v[50:51], -v[223:224]
	v_mul_f64 v[48:49], v[123:124], s[34:35]
	v_add_f64 v[52:53], v[241:242], v[52:53]
	v_add_f64 v[50:51], v[50:51], v[46:47]
	v_add_f64 v[48:49], v[48:49], -v[225:226]
	v_add_f64 v[46:47], v[52:53], v[44:45]
	v_mul_f64 v[52:53], v[106:107], s[24:25]
	v_add_f64 v[44:45], v[48:49], v[50:51]
	v_mul_f64 v[50:51], v[98:99], s[38:39]
	v_mul_f64 v[48:49], v[116:117], s[4:5]
	v_add_f64 v[52:53], v[253:254], v[52:53]
	v_add_f64 v[50:51], v[243:244], v[50:51]
	;; [unrolled: 1-line block ×3, first 2 shown]
	v_mul_f64 v[151:152], v[141:142], s[4:5]
	v_add_f64 v[50:51], v[50:51], v[82:83]
	v_mul_f64 v[82:83], v[92:93], s[52:53]
	v_mul_f64 v[92:93], v[92:93], s[10:11]
	v_add_f64 v[50:51], v[52:53], v[50:51]
	v_mul_f64 v[52:53], v[96:97], s[4:5]
	v_add_f64 v[48:49], v[48:49], v[50:51]
	v_add_f64 v[52:53], v[52:53], -v[235:236]
	v_mul_f64 v[50:51], v[102:103], s[16:17]
	v_add_f64 v[48:49], v[56:57], v[48:49]
	v_add_f64 v[52:53], v[52:53], v[54:55]
	v_add_f64 v[50:51], v[50:51], -v[237:238]
	v_mul_f64 v[54:55], v[135:136], s[34:35]
	v_mul_f64 v[56:57], v[110:111], s[34:35]
	v_add_f64 v[50:51], v[50:51], v[52:53]
	v_add_f64 v[54:55], v[143:144], v[54:55]
	v_mul_f64 v[52:53], v[141:142], s[28:29]
	v_add_f64 v[56:57], v[56:57], -v[239:240]
	v_mul_f64 v[143:144], v[131:132], s[38:39]
	v_add_f64 v[48:49], v[54:55], v[48:49]
	v_add_f64 v[52:53], v[145:146], v[52:53]
	v_mul_f64 v[54:55], v[118:119], s[28:29]
	v_add_f64 v[50:51], v[56:57], v[50:51]
	v_mul_f64 v[56:57], v[139:140], s[6:7]
	v_mul_f64 v[145:146], v[112:113], s[44:45]
	;; [unrolled: 1-line block ×3, first 2 shown]
	v_add_f64 v[48:49], v[52:53], v[48:49]
	v_add_f64 v[54:55], v[54:55], -v[247:248]
	v_mul_f64 v[52:53], v[123:124], s[6:7]
	v_add_f64 v[56:57], v[147:148], v[56:57]
	v_mul_f64 v[147:148], v[135:136], s[20:21]
	v_add_f64 v[54:55], v[54:55], v[50:51]
	v_add_f64 v[52:53], v[52:53], -v[249:250]
	v_add_f64 v[50:51], v[56:57], v[48:49]
	v_add_f64 v[48:49], v[52:53], v[54:55]
	v_fma_f64 v[52:53], v[86:87], s[40:41], v[64:65]
	v_fma_f64 v[54:55], v[94:95], s[52:53], v[70:71]
	;; [unrolled: 1-line block ×4, first 2 shown]
	v_add_f64 v[52:53], v[52:53], v[80:81]
	v_mul_f64 v[80:81], v[116:117], s[16:17]
	v_add_f64 v[64:65], v[64:65], v[78:79]
	v_add_f64 v[52:53], v[54:55], v[52:53]
	v_fma_f64 v[54:55], v[84:85], s[34:35], -v[72:73]
	v_fma_f64 v[56:57], v[100:101], s[18:19], v[80:81]
	v_add_f64 v[64:65], v[70:71], v[64:65]
	v_fma_f64 v[70:71], v[100:101], s[48:49], v[80:81]
	v_add_f64 v[54:55], v[54:55], v[60:61]
	v_add_f64 v[52:53], v[56:57], v[52:53]
	v_fma_f64 v[56:57], v[88:89], s[6:7], -v[82:83]
	v_mul_f64 v[60:61], v[98:99], s[24:25]
	v_add_f64 v[64:65], v[70:71], v[64:65]
	v_fma_f64 v[70:71], v[108:109], s[50:51], v[143:144]
	v_add_f64 v[54:55], v[56:57], v[54:55]
	v_fma_f64 v[56:57], v[96:97], s[16:17], -v[129:130]
	v_add_f64 v[64:65], v[70:71], v[64:65]
	v_fma_f64 v[70:71], v[114:115], s[22:23], v[147:148]
	v_add_f64 v[54:55], v[56:57], v[54:55]
	v_fma_f64 v[56:57], v[108:109], s[44:45], v[143:144]
	v_add_f64 v[64:65], v[70:71], v[64:65]
	v_fma_f64 v[70:71], v[121:122], s[46:47], v[151:152]
	v_add_f64 v[52:53], v[56:57], v[52:53]
	v_fma_f64 v[56:57], v[102:103], s[38:39], -v[145:146]
	v_add_f64 v[64:65], v[70:71], v[64:65]
	v_fma_f64 v[70:71], v[123:124], s[28:29], v[157:158]
	v_add_f64 v[54:55], v[56:57], v[54:55]
	v_fma_f64 v[56:57], v[114:115], s[56:57], v[147:148]
	v_add_f64 v[52:53], v[56:57], v[52:53]
	v_fma_f64 v[56:57], v[110:111], s[20:21], -v[149:150]
	v_add_f64 v[54:55], v[56:57], v[54:55]
	v_fma_f64 v[56:57], v[121:122], s[10:11], v[151:152]
	v_add_f64 v[52:53], v[56:57], v[52:53]
	v_fma_f64 v[56:57], v[118:119], s[4:5], -v[153:154]
	;; [unrolled: 4-line block ×3, first 2 shown]
	v_add_f64 v[52:53], v[52:53], v[56:57]
	v_fma_f64 v[56:57], v[86:87], s[30:31], v[60:61]
	v_fma_f64 v[60:61], v[86:87], s[26:27], v[60:61]
	v_add_f64 v[56:57], v[56:57], v[76:77]
	v_fma_f64 v[76:77], v[94:95], s[10:11], v[62:63]
	v_add_f64 v[60:61], v[60:61], v[74:75]
	v_fma_f64 v[62:63], v[94:95], s[46:47], v[62:63]
	v_fma_f64 v[74:75], v[84:85], s[24:25], v[90:91]
	v_add_f64 v[56:57], v[76:77], v[56:57]
	v_mul_f64 v[76:77], v[116:117], s[34:35]
	v_add_f64 v[60:61], v[62:63], v[60:61]
	v_add_f64 v[66:67], v[74:75], v[66:67]
	v_fma_f64 v[74:75], v[123:124], s[16:17], v[137:138]
	v_fma_f64 v[98:99], v[100:101], s[36:37], v[76:77]
	;; [unrolled: 1-line block ×3, first 2 shown]
	v_add_f64 v[56:57], v[98:99], v[56:57]
	v_mul_f64 v[98:99], v[131:132], s[20:21]
	v_add_f64 v[60:61], v[62:63], v[60:61]
	v_fma_f64 v[106:107], v[108:109], s[56:57], v[98:99]
	v_fma_f64 v[62:63], v[108:109], s[22:23], v[98:99]
	v_add_f64 v[56:57], v[106:107], v[56:57]
	v_mul_f64 v[106:107], v[135:136], s[6:7]
	v_add_f64 v[60:61], v[62:63], v[60:61]
	v_mul_f64 v[135:136], v[139:140], s[16:17]
	v_fma_f64 v[116:117], v[114:115], s[8:9], v[106:107]
	v_fma_f64 v[62:63], v[114:115], s[52:53], v[106:107]
	v_add_f64 v[56:57], v[116:117], v[56:57]
	v_mul_f64 v[116:117], v[141:142], s[38:39]
	v_add_f64 v[60:61], v[62:63], v[60:61]
	v_fma_f64 v[131:132], v[121:122], s[44:45], v[116:117]
	v_fma_f64 v[62:63], v[121:122], s[50:51], v[116:117]
	v_add_f64 v[56:57], v[131:132], v[56:57]
	v_fma_f64 v[131:132], v[84:85], s[24:25], -v[90:91]
	v_add_f64 v[60:61], v[62:63], v[60:61]
	v_fma_f64 v[62:63], v[88:89], s[4:5], v[92:93]
	v_add_f64 v[58:59], v[131:132], v[58:59]
	v_fma_f64 v[131:132], v[88:89], s[4:5], -v[92:93]
	v_add_f64 v[62:63], v[62:63], v[66:67]
	;; [unrolled: 4-line block ×5, first 2 shown]
	v_add_f64 v[58:59], v[131:132], v[58:59]
	v_mul_f64 v[131:132], v[133:134], s[44:45]
	v_fma_f64 v[66:67], v[118:119], s[38:39], v[131:132]
	v_fma_f64 v[133:134], v[118:119], s[38:39], -v[131:132]
	v_add_f64 v[66:67], v[66:67], v[62:63]
	v_fma_f64 v[62:63], v[125:126], s[18:19], v[135:136]
	v_add_f64 v[133:134], v[133:134], v[58:59]
	v_fma_f64 v[58:59], v[125:126], s[48:49], v[135:136]
	v_add_f64 v[62:63], v[62:63], v[60:61]
	v_add_f64 v[60:61], v[74:75], v[66:67]
	v_fma_f64 v[66:67], v[84:85], s[34:35], v[72:73]
	v_add_f64 v[58:59], v[58:59], v[56:57]
	v_fma_f64 v[56:57], v[123:124], s[16:17], -v[137:138]
	v_fma_f64 v[72:73], v[125:126], s[54:55], v[155:156]
	v_add_f64 v[66:67], v[66:67], v[68:69]
	v_fma_f64 v[68:69], v[88:89], s[6:7], v[82:83]
	v_add_f64 v[56:57], v[56:57], v[133:134]
	v_add_f64 v[66:67], v[68:69], v[66:67]
	v_fma_f64 v[68:69], v[96:97], s[16:17], v[129:130]
	v_add_f64 v[66:67], v[68:69], v[66:67]
	v_fma_f64 v[68:69], v[102:103], s[38:39], v[145:146]
	;; [unrolled: 2-line block ×4, first 2 shown]
	v_add_f64 v[68:69], v[68:69], v[66:67]
	buffer_load_dword v66, off, s[60:63], 0 ; 4-byte Folded Reload
	s_waitcnt vmcnt(0)
	v_mul_lo_u16 v74, v66, 17
	v_add_f64 v[66:67], v[72:73], v[64:65]
	v_add_f64 v[64:65], v[70:71], v[68:69]
	v_and_b32_e32 v68, 0xffff, v74
	v_add_lshl_u32 v68, v255, v68, 4
	ds_write_b128 v68, v[20:23]
	ds_write_b128 v68, v[36:39] offset:16
	ds_write_b128 v68, v[40:43] offset:32
	;; [unrolled: 1-line block ×16, first 2 shown]
.LBB0_7:
	s_or_b32 exec_lo, exec_lo, s33
	buffer_load_dword v17, off, s[60:63], 0 ; 4-byte Folded Reload
	s_load_dwordx4 s[4:7], s[2:3], 0x0
	s_waitcnt vmcnt(0) lgkmcnt(0)
	s_barrier
	buffer_gl0_inv
	s_mov_b32 s26, 0x42a4c3d2
	s_mov_b32 s28, 0x66966769
	;; [unrolled: 1-line block ×28, first 2 shown]
	v_mul_u32_u24_e32 v16, 12, v17
	v_add_lshl_u32 v201, v255, v17, 4
	v_lshlrev_b32_e32 v60, 4, v16
	s_clause 0x7
	global_load_dwordx4 v[24:27], v60, s[0:1]
	global_load_dwordx4 v[28:31], v60, s[0:1] offset:16
	global_load_dwordx4 v[228:231], v60, s[0:1] offset:32
	;; [unrolled: 1-line block ×7, first 2 shown]
	ds_read_b128 v[48:51], v201 offset:272
	ds_read_b128 v[52:55], v201 offset:544
	;; [unrolled: 1-line block ×3, first 2 shown]
	ds_read_b128 v[64:67], v201
	ds_read_b128 v[68:71], v201 offset:1088
	ds_read_b128 v[76:79], v201 offset:1360
	s_waitcnt vmcnt(7) lgkmcnt(5)
	v_mul_f64 v[61:62], v[50:51], v[26:27]
	v_mul_f64 v[72:73], v[48:49], v[26:27]
	s_waitcnt vmcnt(6) lgkmcnt(4)
	v_mul_f64 v[74:75], v[54:55], v[30:31]
	v_mul_f64 v[80:81], v[52:53], v[30:31]
	;; [unrolled: 3-line block ×4, first 2 shown]
	v_fma_f64 v[90:91], v[48:49], v[24:25], -v[61:62]
	v_fma_f64 v[92:93], v[50:51], v[24:25], v[72:73]
	ds_read_b128 v[48:51], v201 offset:1632
	v_fma_f64 v[72:73], v[52:53], v[28:29], -v[74:75]
	v_fma_f64 v[74:75], v[54:55], v[28:29], v[80:81]
	ds_read_b128 v[52:55], v201 offset:1904
	v_fma_f64 v[116:117], v[56:57], v[228:229], -v[82:83]
	v_fma_f64 v[118:119], v[58:59], v[228:229], v[84:85]
	s_waitcnt vmcnt(3) lgkmcnt(2)
	v_mul_f64 v[61:62], v[78:79], v[246:247]
	v_fma_f64 v[121:122], v[68:69], v[224:225], -v[86:87]
	v_fma_f64 v[123:124], v[70:71], v[224:225], v[88:89]
	v_mul_f64 v[80:81], v[76:77], v[246:247]
	s_waitcnt vmcnt(2) lgkmcnt(1)
	v_mul_f64 v[56:57], v[50:51], v[242:243]
	v_mul_f64 v[58:59], v[48:49], v[242:243]
	v_add_f64 v[157:158], v[64:65], v[90:91]
	s_waitcnt vmcnt(1) lgkmcnt(0)
	v_mul_f64 v[68:69], v[52:53], v[238:239]
	v_add_f64 v[159:160], v[66:67], v[92:93]
	v_fma_f64 v[125:126], v[76:77], v[244:245], -v[61:62]
	v_mul_f64 v[61:62], v[54:55], v[238:239]
	v_fma_f64 v[127:128], v[78:79], v[244:245], v[80:81]
	v_fma_f64 v[129:130], v[48:49], v[240:241], -v[56:57]
	v_fma_f64 v[131:132], v[50:51], v[240:241], v[58:59]
	ds_read_b128 v[48:51], v201 offset:2176
	ds_read_b128 v[56:59], v201 offset:2448
	s_clause 0x1
	global_load_dwordx4 v[248:251], v60, s[0:1] offset:128
	global_load_dwordx4 v[18:21], v60, s[0:1] offset:144
	v_fma_f64 v[135:136], v[54:55], v[236:237], v[68:69]
	v_fma_f64 v[133:134], v[52:53], v[236:237], -v[61:62]
	s_waitcnt vmcnt(2) lgkmcnt(1)
	v_mul_f64 v[52:53], v[50:51], v[234:235]
	v_add_f64 v[218:219], v[131:132], v[135:136]
	v_add_f64 v[212:213], v[129:130], v[133:134]
	v_fma_f64 v[137:138], v[48:49], v[232:233], -v[52:53]
	v_mul_f64 v[48:49], v[48:49], v[234:235]
	v_add_f64 v[206:207], v[125:126], -v[137:138]
	v_fma_f64 v[139:140], v[50:51], v[232:233], v[48:49]
	v_mul_f64 v[208:209], v[206:207], s[22:23]
	v_add_f64 v[202:203], v[127:128], -v[139:140]
	v_mul_f64 v[204:205], v[202:203], s[22:23]
	s_waitcnt vmcnt(1) lgkmcnt(0)
	v_mul_f64 v[61:62], v[58:59], v[250:251]
	v_fma_f64 v[141:142], v[56:57], v[248:249], -v[61:62]
	v_mul_f64 v[56:57], v[56:57], v[250:251]
	v_fma_f64 v[143:144], v[58:59], v[248:249], v[56:57]
	ds_read_b128 v[56:59], v201 offset:2720
	ds_read_b128 v[68:71], v201 offset:2992
	s_waitcnt vmcnt(0) lgkmcnt(1)
	v_mul_f64 v[61:62], v[58:59], v[20:21]
	v_fma_f64 v[145:146], v[56:57], v[18:19], -v[61:62]
	v_mul_f64 v[56:57], v[56:57], v[20:21]
	buffer_store_dword v18, off, s[60:63], 0 offset:8 ; 4-byte Folded Spill
	buffer_store_dword v19, off, s[60:63], 0 offset:12 ; 4-byte Folded Spill
	;; [unrolled: 1-line block ×4, first 2 shown]
	v_fma_f64 v[147:148], v[58:59], v[18:19], v[56:57]
	s_clause 0x1
	global_load_dwordx4 v[18:21], v60, s[0:1] offset:160
	global_load_dwordx4 v[32:35], v60, s[0:1] offset:176
	s_mov_b32 s0, 0xebaa3ed8
	s_mov_b32 s1, 0x3fbedb7d
	s_waitcnt vmcnt(1) lgkmcnt(0)
	v_mul_f64 v[76:77], v[70:71], v[20:21]
	v_fma_f64 v[149:150], v[68:69], v[18:19], -v[76:77]
	v_mul_f64 v[68:69], v[68:69], v[20:21]
	buffer_store_dword v18, off, s[60:63], 0 offset:24 ; 4-byte Folded Spill
	buffer_store_dword v19, off, s[60:63], 0 offset:28 ; 4-byte Folded Spill
	;; [unrolled: 1-line block ×4, first 2 shown]
	v_fma_f64 v[151:152], v[70:71], v[18:19], v[68:69]
	ds_read_b128 v[68:71], v201 offset:3264
	s_waitcnt vmcnt(0) lgkmcnt(0)
	v_mul_f64 v[76:77], v[70:71], v[34:35]
	v_fma_f64 v[153:154], v[68:69], v[32:33], -v[76:77]
	v_mul_f64 v[68:69], v[68:69], v[34:35]
	buffer_store_dword v32, off, s[60:63], 0 offset:40 ; 4-byte Folded Spill
	buffer_store_dword v33, off, s[60:63], 0 offset:44 ; 4-byte Folded Spill
	;; [unrolled: 1-line block ×4, first 2 shown]
	buffer_load_dword v16, off, s[60:63], 0 offset:4 ; 4-byte Folded Reload
	v_add_f64 v[84:85], v[90:91], v[153:154]
	v_fma_f64 v[155:156], v[70:71], v[32:33], v[68:69]
	v_add_f64 v[68:69], v[92:93], -v[155:156]
	v_add_f64 v[108:109], v[92:93], v[155:156]
	v_mul_f64 v[70:71], v[68:69], s[20:21]
	v_mul_f64 v[76:77], v[68:69], s[26:27]
	v_mul_f64 v[78:79], v[68:69], s[28:29]
	v_mul_f64 v[80:81], v[68:69], s[18:19]
	v_mul_f64 v[82:83], v[68:69], s[22:23]
	v_mul_f64 v[68:69], v[68:69], s[30:31]
	v_fma_f64 v[86:87], v[84:85], s[10:11], -v[70:71]
	v_fma_f64 v[88:89], v[84:85], s[2:3], -v[76:77]
	v_fma_f64 v[76:77], v[84:85], s[2:3], v[76:77]
	v_fma_f64 v[94:95], v[84:85], s[0:1], -v[78:79]
	v_fma_f64 v[104:105], v[84:85], s[16:17], -v[82:83]
	;; [unrolled: 1-line block ×3, first 2 shown]
	v_fma_f64 v[114:115], v[84:85], s[24:25], v[68:69]
	v_add_f64 v[68:69], v[90:91], -v[153:154]
	v_fma_f64 v[106:107], v[84:85], s[16:17], v[82:83]
	v_fma_f64 v[96:97], v[84:85], s[0:1], v[78:79]
	v_fma_f64 v[98:99], v[84:85], s[8:9], -v[80:81]
	v_fma_f64 v[100:101], v[84:85], s[8:9], v[80:81]
	v_fma_f64 v[70:71], v[84:85], s[10:11], v[70:71]
	v_add_f64 v[181:182], v[64:65], v[86:87]
	v_add_f64 v[86:87], v[64:65], v[76:77]
	v_mul_f64 v[82:83], v[68:69], s[28:29]
	v_mul_f64 v[78:79], v[68:69], s[20:21]
	;; [unrolled: 1-line block ×6, first 2 shown]
	v_add_f64 v[90:91], v[64:65], v[98:99]
	v_add_f64 v[98:99], v[64:65], v[104:105]
	s_mov_b32 s21, 0x3fddbe06
	v_fma_f64 v[165:166], v[108:109], s[0:1], v[82:83]
	v_fma_f64 v[110:111], v[108:109], s[10:11], v[78:79]
	v_fma_f64 v[78:79], v[108:109], s[10:11], -v[78:79]
	v_fma_f64 v[161:162], v[108:109], s[2:3], v[80:81]
	v_fma_f64 v[173:174], v[108:109], s[16:17], v[102:103]
	v_fma_f64 v[163:164], v[108:109], s[2:3], -v[80:81]
	v_fma_f64 v[167:168], v[108:109], s[0:1], -v[82:83]
	v_fma_f64 v[169:170], v[108:109], s[8:9], v[84:85]
	v_fma_f64 v[177:178], v[108:109], s[24:25], v[68:69]
	v_fma_f64 v[179:180], v[108:109], s[24:25], -v[68:69]
	v_fma_f64 v[171:172], v[108:109], s[8:9], -v[84:85]
	;; [unrolled: 1-line block ×3, first 2 shown]
	v_add_f64 v[82:83], v[64:65], v[70:71]
	v_add_f64 v[70:71], v[64:65], v[88:89]
	v_add_f64 v[102:103], v[64:65], v[100:101]
	v_add_f64 v[76:77], v[66:67], v[165:166]
	v_add_f64 v[165:166], v[74:75], -v[151:152]
	v_add_f64 v[80:81], v[66:67], v[78:79]
	v_add_f64 v[68:69], v[66:67], v[161:162]
	v_add_f64 v[78:79], v[64:65], v[94:95]
	v_add_f64 v[94:95], v[64:65], v[96:97]
	v_add_f64 v[96:97], v[66:67], v[173:174]
	v_add_f64 v[161:162], v[72:73], v[149:150]
	v_add_f64 v[173:174], v[118:119], -v[147:148]
	v_add_f64 v[183:184], v[66:67], v[110:111]
	v_add_f64 v[92:93], v[66:67], v[167:168]
	;; [unrolled: 7-line block ×3, first 2 shown]
	v_add_f64 v[100:101], v[66:67], v[171:172]
	v_add_f64 v[108:109], v[66:67], v[175:176]
	;; [unrolled: 1-line block ×3, first 2 shown]
	v_add_f64 v[175:176], v[116:117], -v[145:146]
	v_add_f64 v[104:105], v[66:67], v[177:178]
	v_mul_f64 v[185:186], v[165:166], s[26:27]
	v_add_f64 v[114:115], v[66:67], v[179:180]
	v_add_f64 v[72:73], v[157:158], v[72:73]
	;; [unrolled: 1-line block ×3, first 2 shown]
	v_mul_f64 v[189:190], v[173:174], s[28:29]
	v_mul_f64 v[187:188], v[167:168], s[26:27]
	;; [unrolled: 1-line block ×3, first 2 shown]
	v_fma_f64 v[64:65], v[161:162], s[2:3], -v[185:186]
	v_fma_f64 v[185:186], v[161:162], s[2:3], v[185:186]
	v_add_f64 v[72:73], v[72:73], v[116:117]
	v_add_f64 v[74:75], v[74:75], v[118:119]
	v_fma_f64 v[171:172], v[169:170], s[0:1], -v[189:190]
	v_fma_f64 v[66:67], v[163:164], s[2:3], v[187:188]
	v_add_f64 v[64:65], v[64:65], v[181:182]
	v_add_f64 v[181:182], v[123:124], -v[143:144]
	v_add_f64 v[82:83], v[185:186], v[82:83]
	v_fma_f64 v[185:186], v[163:164], s[2:3], -v[187:188]
	v_add_f64 v[72:73], v[72:73], v[121:122]
	v_add_f64 v[74:75], v[74:75], v[123:124]
	;; [unrolled: 1-line block ×3, first 2 shown]
	v_add_f64 v[183:184], v[121:122], -v[141:142]
	v_add_f64 v[64:65], v[171:172], v[64:65]
	v_add_f64 v[171:172], v[118:119], v[147:148]
	v_mul_f64 v[193:194], v[181:182], s[18:19]
	v_add_f64 v[80:81], v[185:186], v[80:81]
	v_fma_f64 v[185:186], v[169:170], s[0:1], v[189:190]
	v_add_f64 v[72:73], v[72:73], v[125:126]
	v_add_f64 v[74:75], v[74:75], v[127:128]
	v_mul_f64 v[195:196], v[183:184], s[18:19]
	v_fma_f64 v[177:178], v[171:172], s[0:1], v[191:192]
	v_add_f64 v[82:83], v[185:186], v[82:83]
	v_fma_f64 v[185:186], v[171:172], s[0:1], -v[191:192]
	v_add_f64 v[72:73], v[72:73], v[129:130]
	v_add_f64 v[74:75], v[74:75], v[131:132]
	;; [unrolled: 1-line block ×7, first 2 shown]
	v_fma_f64 v[179:180], v[177:178], s[8:9], -v[193:194]
	v_fma_f64 v[185:186], v[177:178], s[8:9], v[193:194]
	v_add_f64 v[72:73], v[72:73], v[137:138]
	v_add_f64 v[74:75], v[74:75], v[139:140]
	;; [unrolled: 1-line block ×7, first 2 shown]
	v_fma_f64 v[197:198], v[179:180], s[8:9], v[195:196]
	v_fma_f64 v[185:186], v[179:180], s[8:9], -v[195:196]
	v_add_f64 v[72:73], v[72:73], v[145:146]
	v_add_f64 v[74:75], v[74:75], v[147:148]
	;; [unrolled: 1-line block ×7, first 2 shown]
	v_fma_f64 v[199:200], v[197:198], s[16:17], -v[204:205]
	v_fma_f64 v[185:186], v[197:198], s[16:17], v[204:205]
	v_add_f64 v[72:73], v[72:73], v[153:154]
	v_add_f64 v[74:75], v[74:75], v[155:156]
	;; [unrolled: 1-line block ×5, first 2 shown]
	v_fma_f64 v[210:211], v[199:200], s[16:17], v[208:209]
	v_fma_f64 v[185:186], v[199:200], s[16:17], -v[208:209]
	v_add_f64 v[66:67], v[210:211], v[66:67]
	v_add_f64 v[210:211], v[131:132], -v[135:136]
	v_add_f64 v[185:186], v[185:186], v[80:81]
	v_mul_f64 v[214:215], v[210:211], s[30:31]
	v_fma_f64 v[216:217], v[212:213], s[24:25], -v[214:215]
	v_fma_f64 v[80:81], v[212:213], s[24:25], v[214:215]
	v_add_f64 v[64:65], v[216:217], v[64:65]
	v_add_f64 v[216:217], v[129:130], -v[133:134]
	v_add_f64 v[80:81], v[80:81], v[82:83]
	s_waitcnt vmcnt(0)
	v_lshl_add_u32 v133, v17, 4, v16
	v_mul_f64 v[220:221], v[216:217], s[30:31]
	v_fma_f64 v[187:188], v[218:219], s[24:25], -v[220:221]
	v_fma_f64 v[222:223], v[218:219], s[24:25], v[220:221]
	v_mul_f64 v[220:221], v[210:211], s[20:21]
	v_add_f64 v[82:83], v[187:188], v[185:186]
	v_mul_f64 v[185:186], v[165:166], s[18:19]
	v_add_f64 v[66:67], v[222:223], v[66:67]
	v_mul_f64 v[222:223], v[216:217], s[20:21]
	v_fma_f64 v[187:188], v[161:162], s[8:9], -v[185:186]
	v_fma_f64 v[185:186], v[161:162], s[8:9], v[185:186]
	v_add_f64 v[70:71], v[187:188], v[70:71]
	v_mul_f64 v[187:188], v[167:168], s[18:19]
	v_add_f64 v[86:87], v[185:186], v[86:87]
	v_fma_f64 v[189:190], v[163:164], s[8:9], v[187:188]
	v_fma_f64 v[185:186], v[163:164], s[8:9], -v[187:188]
	v_fma_f64 v[187:188], v[218:219], s[10:11], -v[222:223]
	v_add_f64 v[68:69], v[189:190], v[68:69]
	v_mul_f64 v[189:190], v[173:174], s[30:31]
	v_add_f64 v[84:85], v[185:186], v[84:85]
	v_fma_f64 v[191:192], v[169:170], s[24:25], -v[189:190]
	v_fma_f64 v[185:186], v[169:170], s[24:25], v[189:190]
	v_add_f64 v[70:71], v[191:192], v[70:71]
	v_mul_f64 v[191:192], v[175:176], s[30:31]
	v_add_f64 v[86:87], v[185:186], v[86:87]
	v_fma_f64 v[193:194], v[171:172], s[24:25], v[191:192]
	v_fma_f64 v[185:186], v[171:172], s[24:25], -v[191:192]
	v_add_f64 v[68:69], v[193:194], v[68:69]
	v_mul_f64 v[193:194], v[181:182], s[36:37]
	v_add_f64 v[84:85], v[185:186], v[84:85]
	v_fma_f64 v[195:196], v[177:178], s[16:17], -v[193:194]
	v_fma_f64 v[185:186], v[177:178], s[16:17], v[193:194]
	v_add_f64 v[70:71], v[195:196], v[70:71]
	v_mul_f64 v[195:196], v[183:184], s[36:37]
	v_add_f64 v[86:87], v[185:186], v[86:87]
	v_fma_f64 v[204:205], v[179:180], s[16:17], v[195:196]
	v_fma_f64 v[185:186], v[179:180], s[16:17], -v[195:196]
	v_add_f64 v[68:69], v[204:205], v[68:69]
	v_mul_f64 v[204:205], v[202:203], s[34:35]
	v_add_f64 v[84:85], v[185:186], v[84:85]
	v_fma_f64 v[208:209], v[197:198], s[0:1], -v[204:205]
	v_fma_f64 v[185:186], v[197:198], s[0:1], v[204:205]
	v_add_f64 v[70:71], v[208:209], v[70:71]
	v_mul_f64 v[208:209], v[206:207], s[34:35]
	v_add_f64 v[86:87], v[185:186], v[86:87]
	v_fma_f64 v[185:186], v[199:200], s[0:1], -v[208:209]
	v_fma_f64 v[214:215], v[199:200], s[0:1], v[208:209]
	v_add_f64 v[185:186], v[185:186], v[84:85]
	v_fma_f64 v[84:85], v[212:213], s[10:11], v[220:221]
	v_add_f64 v[214:215], v[214:215], v[68:69]
	v_fma_f64 v[68:69], v[212:213], s[10:11], -v[220:221]
	v_mul_f64 v[220:221], v[210:211], s[22:23]
	v_add_f64 v[84:85], v[84:85], v[86:87]
	v_add_f64 v[86:87], v[187:188], v[185:186]
	v_mul_f64 v[185:186], v[165:166], s[30:31]
	v_add_f64 v[68:69], v[68:69], v[70:71]
	v_fma_f64 v[70:71], v[218:219], s[10:11], v[222:223]
	v_mul_f64 v[222:223], v[216:217], s[22:23]
	v_fma_f64 v[187:188], v[161:162], s[24:25], -v[185:186]
	v_fma_f64 v[185:186], v[161:162], s[24:25], v[185:186]
	v_add_f64 v[70:71], v[70:71], v[214:215]
	v_add_f64 v[78:79], v[187:188], v[78:79]
	v_mul_f64 v[187:188], v[167:168], s[30:31]
	v_add_f64 v[94:95], v[185:186], v[94:95]
	s_mov_b32 s31, 0x3fcea1e5
	v_fma_f64 v[189:190], v[163:164], s[24:25], v[187:188]
	v_fma_f64 v[185:186], v[163:164], s[24:25], -v[187:188]
	v_fma_f64 v[187:188], v[218:219], s[16:17], -v[222:223]
	v_add_f64 v[76:77], v[189:190], v[76:77]
	v_mul_f64 v[189:190], v[173:174], s[38:39]
	v_add_f64 v[92:93], v[185:186], v[92:93]
	v_fma_f64 v[191:192], v[169:170], s[8:9], -v[189:190]
	v_fma_f64 v[185:186], v[169:170], s[8:9], v[189:190]
	v_add_f64 v[78:79], v[191:192], v[78:79]
	v_mul_f64 v[191:192], v[175:176], s[38:39]
	v_add_f64 v[94:95], v[185:186], v[94:95]
	v_fma_f64 v[193:194], v[171:172], s[8:9], v[191:192]
	v_fma_f64 v[185:186], v[171:172], s[8:9], -v[191:192]
	v_add_f64 v[76:77], v[193:194], v[76:77]
	v_mul_f64 v[193:194], v[181:182], s[20:21]
	v_add_f64 v[92:93], v[185:186], v[92:93]
	v_fma_f64 v[195:196], v[177:178], s[10:11], -v[193:194]
	v_fma_f64 v[185:186], v[177:178], s[10:11], v[193:194]
	v_add_f64 v[78:79], v[195:196], v[78:79]
	v_mul_f64 v[195:196], v[183:184], s[20:21]
	v_add_f64 v[94:95], v[185:186], v[94:95]
	v_fma_f64 v[204:205], v[179:180], s[10:11], v[195:196]
	v_fma_f64 v[185:186], v[179:180], s[10:11], -v[195:196]
	v_add_f64 v[76:77], v[204:205], v[76:77]
	v_mul_f64 v[204:205], v[202:203], s[26:27]
	v_add_f64 v[92:93], v[185:186], v[92:93]
	v_fma_f64 v[208:209], v[197:198], s[2:3], -v[204:205]
	v_fma_f64 v[185:186], v[197:198], s[2:3], v[204:205]
	v_add_f64 v[78:79], v[208:209], v[78:79]
	v_mul_f64 v[208:209], v[206:207], s[26:27]
	v_add_f64 v[94:95], v[185:186], v[94:95]
	v_fma_f64 v[185:186], v[199:200], s[2:3], -v[208:209]
	v_fma_f64 v[214:215], v[199:200], s[2:3], v[208:209]
	v_add_f64 v[185:186], v[185:186], v[92:93]
	v_fma_f64 v[92:93], v[212:213], s[16:17], v[220:221]
	v_add_f64 v[214:215], v[214:215], v[76:77]
	v_fma_f64 v[76:77], v[212:213], s[16:17], -v[220:221]
	v_add_f64 v[92:93], v[92:93], v[94:95]
	v_add_f64 v[94:95], v[187:188], v[185:186]
	v_mul_f64 v[185:186], v[165:166], s[36:37]
	v_add_f64 v[76:77], v[76:77], v[78:79]
	v_fma_f64 v[78:79], v[218:219], s[16:17], v[222:223]
	v_fma_f64 v[187:188], v[161:162], s[16:17], -v[185:186]
	v_fma_f64 v[185:186], v[161:162], s[16:17], v[185:186]
	v_add_f64 v[78:79], v[78:79], v[214:215]
	v_add_f64 v[90:91], v[187:188], v[90:91]
	v_mul_f64 v[187:188], v[167:168], s[36:37]
	v_add_f64 v[102:103], v[185:186], v[102:103]
	v_fma_f64 v[189:190], v[163:164], s[16:17], v[187:188]
	v_fma_f64 v[185:186], v[163:164], s[16:17], -v[187:188]
	v_add_f64 v[88:89], v[189:190], v[88:89]
	v_mul_f64 v[189:190], v[173:174], s[20:21]
	v_add_f64 v[100:101], v[185:186], v[100:101]
	v_fma_f64 v[191:192], v[169:170], s[10:11], -v[189:190]
	v_fma_f64 v[185:186], v[169:170], s[10:11], v[189:190]
	v_add_f64 v[90:91], v[191:192], v[90:91]
	v_mul_f64 v[191:192], v[175:176], s[20:21]
	v_add_f64 v[102:103], v[185:186], v[102:103]
	v_fma_f64 v[193:194], v[171:172], s[10:11], v[191:192]
	v_fma_f64 v[185:186], v[171:172], s[10:11], -v[191:192]
	v_add_f64 v[88:89], v[193:194], v[88:89]
	v_mul_f64 v[193:194], v[181:182], s[28:29]
	v_add_f64 v[100:101], v[185:186], v[100:101]
	v_fma_f64 v[195:196], v[177:178], s[0:1], -v[193:194]
	v_fma_f64 v[185:186], v[177:178], s[0:1], v[193:194]
	v_add_f64 v[90:91], v[195:196], v[90:91]
	v_mul_f64 v[195:196], v[183:184], s[28:29]
	v_add_f64 v[102:103], v[185:186], v[102:103]
	s_mov_b32 s29, 0x3fea55e2
	s_mov_b32 s28, s26
	v_mul_f64 v[220:221], v[210:211], s[28:29]
	v_mul_f64 v[222:223], v[216:217], s[28:29]
	v_fma_f64 v[204:205], v[179:180], s[0:1], v[195:196]
	v_fma_f64 v[185:186], v[179:180], s[0:1], -v[195:196]
	v_fma_f64 v[187:188], v[218:219], s[2:3], -v[222:223]
	v_add_f64 v[88:89], v[204:205], v[88:89]
	v_mul_f64 v[204:205], v[202:203], s[30:31]
	v_add_f64 v[100:101], v[185:186], v[100:101]
	v_fma_f64 v[208:209], v[197:198], s[24:25], -v[204:205]
	v_fma_f64 v[185:186], v[197:198], s[24:25], v[204:205]
	v_add_f64 v[90:91], v[208:209], v[90:91]
	v_mul_f64 v[208:209], v[206:207], s[30:31]
	v_add_f64 v[102:103], v[185:186], v[102:103]
	v_fma_f64 v[185:186], v[199:200], s[24:25], -v[208:209]
	v_fma_f64 v[214:215], v[199:200], s[24:25], v[208:209]
	v_add_f64 v[185:186], v[185:186], v[100:101]
	v_fma_f64 v[100:101], v[212:213], s[2:3], v[220:221]
	v_add_f64 v[214:215], v[214:215], v[88:89]
	v_fma_f64 v[88:89], v[212:213], s[2:3], -v[220:221]
	v_mul_f64 v[220:221], v[210:211], s[18:19]
	v_add_f64 v[100:101], v[100:101], v[102:103]
	v_add_f64 v[102:103], v[187:188], v[185:186]
	v_mul_f64 v[185:186], v[165:166], s[34:35]
	v_add_f64 v[88:89], v[88:89], v[90:91]
	v_fma_f64 v[90:91], v[218:219], s[2:3], v[222:223]
	v_mul_f64 v[222:223], v[216:217], s[18:19]
	v_mul_f64 v[165:166], v[165:166], s[20:21]
	v_fma_f64 v[187:188], v[161:162], s[0:1], -v[185:186]
	v_fma_f64 v[185:186], v[161:162], s[0:1], v[185:186]
	v_add_f64 v[90:91], v[90:91], v[214:215]
	v_add_f64 v[98:99], v[187:188], v[98:99]
	v_mul_f64 v[187:188], v[167:168], s[34:35]
	v_add_f64 v[110:111], v[185:186], v[110:111]
	v_mul_f64 v[167:168], v[167:168], s[20:21]
	v_fma_f64 v[189:190], v[163:164], s[0:1], v[187:188]
	v_fma_f64 v[185:186], v[163:164], s[0:1], -v[187:188]
	v_fma_f64 v[187:188], v[218:219], s[8:9], -v[222:223]
	v_add_f64 v[96:97], v[189:190], v[96:97]
	v_mul_f64 v[189:190], v[173:174], s[26:27]
	v_add_f64 v[108:109], v[185:186], v[108:109]
	v_mul_f64 v[173:174], v[173:174], s[22:23]
	v_fma_f64 v[191:192], v[169:170], s[2:3], -v[189:190]
	v_fma_f64 v[185:186], v[169:170], s[2:3], v[189:190]
	v_add_f64 v[98:99], v[191:192], v[98:99]
	v_mul_f64 v[191:192], v[175:176], s[26:27]
	v_add_f64 v[110:111], v[185:186], v[110:111]
	v_mul_f64 v[175:176], v[175:176], s[22:23]
	v_fma_f64 v[193:194], v[171:172], s[2:3], v[191:192]
	v_fma_f64 v[185:186], v[171:172], s[2:3], -v[191:192]
	v_mul_f64 v[191:192], v[210:211], s[34:35]
	v_add_f64 v[96:97], v[193:194], v[96:97]
	v_mul_f64 v[193:194], v[181:182], s[30:31]
	v_add_f64 v[108:109], v[185:186], v[108:109]
	v_mul_f64 v[181:182], v[181:182], s[28:29]
	v_fma_f64 v[195:196], v[177:178], s[24:25], -v[193:194]
	v_fma_f64 v[185:186], v[177:178], s[24:25], v[193:194]
	v_mul_f64 v[193:194], v[216:217], s[34:35]
	v_add_f64 v[98:99], v[195:196], v[98:99]
	v_mul_f64 v[195:196], v[183:184], s[30:31]
	v_add_f64 v[110:111], v[185:186], v[110:111]
	v_mul_f64 v[183:184], v[183:184], s[28:29]
	v_fma_f64 v[204:205], v[179:180], s[24:25], v[195:196]
	v_fma_f64 v[185:186], v[179:180], s[24:25], -v[195:196]
	v_add_f64 v[96:97], v[204:205], v[96:97]
	v_mul_f64 v[204:205], v[202:203], s[20:21]
	v_add_f64 v[108:109], v[185:186], v[108:109]
	v_fma_f64 v[208:209], v[197:198], s[10:11], -v[204:205]
	v_fma_f64 v[185:186], v[197:198], s[10:11], v[204:205]
	v_add_f64 v[98:99], v[208:209], v[98:99]
	v_mul_f64 v[208:209], v[206:207], s[20:21]
	v_add_f64 v[110:111], v[185:186], v[110:111]
	v_fma_f64 v[185:186], v[199:200], s[10:11], -v[208:209]
	v_fma_f64 v[214:215], v[199:200], s[10:11], v[208:209]
	v_add_f64 v[185:186], v[185:186], v[108:109]
	v_fma_f64 v[108:109], v[212:213], s[8:9], v[220:221]
	v_add_f64 v[214:215], v[214:215], v[96:97]
	v_fma_f64 v[96:97], v[212:213], s[8:9], -v[220:221]
	v_add_f64 v[108:109], v[108:109], v[110:111]
	v_add_f64 v[110:111], v[187:188], v[185:186]
	v_fma_f64 v[185:186], v[161:162], s[10:11], -v[165:166]
	v_fma_f64 v[161:162], v[161:162], s[10:11], v[165:166]
	v_fma_f64 v[165:166], v[169:170], s[16:17], v[173:174]
	v_add_f64 v[96:97], v[96:97], v[98:99]
	v_fma_f64 v[98:99], v[218:219], s[8:9], v[222:223]
	v_add_f64 v[106:107], v[185:186], v[106:107]
	v_fma_f64 v[185:186], v[163:164], s[10:11], v[167:168]
	v_fma_f64 v[163:164], v[163:164], s[10:11], -v[167:168]
	v_fma_f64 v[167:168], v[171:172], s[16:17], -v[175:176]
	v_add_f64 v[112:113], v[161:162], v[112:113]
	v_fma_f64 v[161:162], v[177:178], s[2:3], v[181:182]
	v_add_f64 v[98:99], v[98:99], v[214:215]
	v_add_f64 v[104:105], v[185:186], v[104:105]
	v_fma_f64 v[185:186], v[169:170], s[16:17], -v[173:174]
	v_add_f64 v[114:115], v[163:164], v[114:115]
	v_fma_f64 v[163:164], v[179:180], s[2:3], -v[183:184]
	v_add_f64 v[112:113], v[165:166], v[112:113]
	v_add_f64 v[106:107], v[185:186], v[106:107]
	v_fma_f64 v[185:186], v[171:172], s[16:17], v[175:176]
	v_add_f64 v[114:115], v[167:168], v[114:115]
	v_add_f64 v[112:113], v[161:162], v[112:113]
	v_fma_f64 v[161:162], v[212:213], s[0:1], v[191:192]
	v_add_f64 v[104:105], v[185:186], v[104:105]
	v_fma_f64 v[185:186], v[177:178], s[2:3], -v[181:182]
	v_add_f64 v[114:115], v[163:164], v[114:115]
	v_fma_f64 v[163:164], v[218:219], s[0:1], -v[193:194]
	v_add_f64 v[106:107], v[185:186], v[106:107]
	v_fma_f64 v[185:186], v[179:180], s[2:3], v[183:184]
	v_add_f64 v[104:105], v[185:186], v[104:105]
	v_mul_f64 v[185:186], v[202:203], s[18:19]
	v_fma_f64 v[187:188], v[197:198], s[8:9], -v[185:186]
	v_fma_f64 v[165:166], v[197:198], s[8:9], v[185:186]
	v_add_f64 v[106:107], v[187:188], v[106:107]
	v_mul_f64 v[187:188], v[206:207], s[18:19]
	v_add_f64 v[112:113], v[165:166], v[112:113]
	v_fma_f64 v[189:190], v[199:200], s[8:9], v[187:188]
	v_fma_f64 v[167:168], v[199:200], s[8:9], -v[187:188]
	v_add_f64 v[112:113], v[161:162], v[112:113]
	v_add_f64 v[189:190], v[189:190], v[104:105]
	v_fma_f64 v[104:105], v[212:213], s[0:1], -v[191:192]
	v_add_f64 v[114:115], v[167:168], v[114:115]
	v_add_f64 v[104:105], v[104:105], v[106:107]
	v_fma_f64 v[106:107], v[218:219], s[0:1], v[193:194]
	v_add_f64 v[114:115], v[163:164], v[114:115]
	v_add_f64 v[106:107], v[106:107], v[189:190]
	ds_write_b128 v133, v[64:67] offset:272
	ds_write_b128 v133, v[68:71] offset:544
	;; [unrolled: 1-line block ×12, first 2 shown]
	ds_write_b128 v133, v[72:75]
	s_waitcnt lgkmcnt(0)
	s_waitcnt_vscnt null, 0x0
	s_barrier
	buffer_gl0_inv
	s_and_saveexec_b32 s1, vcc_lo
	s_cbranch_execz .LBB0_9
; %bb.8:
	buffer_load_dword v16, off, s[60:63], 0 ; 4-byte Folded Reload
	s_add_u32 s2, s12, 0xdd0
	s_addc_u32 s3, s13, 0
	s_waitcnt vmcnt(0)
	v_lshlrev_b32_e32 v18, 4, v16
	s_clause 0x9
	global_load_dwordx4 v[116:119], v18, s[2:3]
	global_load_dwordx4 v[121:124], v18, s[2:3] offset:208
	global_load_dwordx4 v[125:128], v18, s[2:3] offset:416
	;; [unrolled: 1-line block ×9, first 2 shown]
	v_add_co_u32 v16, s0, s2, v18
	v_add_co_ci_u32_e64 v17, null, s3, 0, s0
	v_add_co_u32 v186, s0, 0x800, v16
	v_add_co_ci_u32_e64 v187, s0, 0, v17, s0
	v_or_b32_e32 v16, 0xd00, v18
	global_load_dwordx4 v[158:161], v[186:187], off offset:32
	ds_read_b128 v[162:165], v133
	ds_read_b128 v[166:169], v133 offset:208
	ds_read_b128 v[174:177], v133 offset:416
	global_load_dwordx4 v[170:173], v16, s[2:3]
	s_waitcnt vmcnt(11) lgkmcnt(2)
	v_mul_f64 v[178:179], v[164:165], v[118:119]
	v_mul_f64 v[118:119], v[162:163], v[118:119]
	s_waitcnt vmcnt(10) lgkmcnt(1)
	v_mul_f64 v[180:181], v[168:169], v[123:124]
	v_mul_f64 v[123:124], v[166:167], v[123:124]
	v_fma_f64 v[162:163], v[162:163], v[116:117], -v[178:179]
	v_fma_f64 v[164:165], v[164:165], v[116:117], v[118:119]
	ds_read_b128 v[116:119], v133 offset:624
	s_waitcnt vmcnt(9) lgkmcnt(1)
	v_mul_f64 v[178:179], v[176:177], v[127:128]
	v_mul_f64 v[127:128], v[174:175], v[127:128]
	v_fma_f64 v[166:167], v[166:167], v[121:122], -v[180:181]
	v_fma_f64 v[168:169], v[168:169], v[121:122], v[123:124]
	ds_read_b128 v[121:124], v133 offset:832
	;; [unrolled: 6-line block ×4, first 2 shown]
	ds_read_b128 v[178:181], v133 offset:1456
	s_waitcnt vmcnt(6) lgkmcnt(2)
	v_mul_f64 v[184:185], v[127:128], v[140:141]
	v_fma_f64 v[121:122], v[121:122], v[134:135], -v[182:183]
	v_fma_f64 v[123:124], v[123:124], v[134:135], v[136:137]
	v_mul_f64 v[134:135], v[125:126], v[140:141]
	s_waitcnt vmcnt(5) lgkmcnt(1)
	v_mul_f64 v[140:141], v[131:132], v[144:145]
	v_mul_f64 v[144:145], v[129:130], v[144:145]
	s_waitcnt vmcnt(4) lgkmcnt(0)
	v_mul_f64 v[182:183], v[180:181], v[148:149]
	v_mul_f64 v[148:149], v[178:179], v[148:149]
	v_fma_f64 v[125:126], v[125:126], v[138:139], -v[184:185]
	v_fma_f64 v[127:128], v[127:128], v[138:139], v[134:135]
	ds_read_b128 v[134:137], v133 offset:1664
	v_fma_f64 v[129:130], v[129:130], v[142:143], -v[140:141]
	ds_read_b128 v[138:141], v133 offset:1872
	v_fma_f64 v[131:132], v[131:132], v[142:143], v[144:145]
	v_fma_f64 v[142:143], v[178:179], v[146:147], -v[182:183]
	v_fma_f64 v[144:145], v[180:181], v[146:147], v[148:149]
	global_load_dwordx4 v[146:149], v[186:187], off offset:240
	s_waitcnt vmcnt(4) lgkmcnt(1)
	v_mul_f64 v[184:185], v[136:137], v[152:153]
	v_mul_f64 v[152:153], v[134:135], v[152:153]
	s_waitcnt vmcnt(3) lgkmcnt(0)
	v_mul_f64 v[182:183], v[140:141], v[156:157]
	v_mul_f64 v[156:157], v[138:139], v[156:157]
	v_fma_f64 v[134:135], v[134:135], v[150:151], -v[184:185]
	v_fma_f64 v[136:137], v[136:137], v[150:151], v[152:153]
	ds_read_b128 v[150:153], v133 offset:2080
	ds_read_b128 v[178:181], v133 offset:2288
	v_fma_f64 v[138:139], v[138:139], v[154:155], -v[182:183]
	v_fma_f64 v[140:141], v[140:141], v[154:155], v[156:157]
	global_load_dwordx4 v[154:157], v[186:187], off offset:448
	s_waitcnt vmcnt(3) lgkmcnt(1)
	v_mul_f64 v[184:185], v[152:153], v[160:161]
	v_mul_f64 v[160:161], v[150:151], v[160:161]
	v_fma_f64 v[150:151], v[150:151], v[158:159], -v[184:185]
	v_fma_f64 v[152:153], v[152:153], v[158:159], v[160:161]
	global_load_dwordx4 v[158:161], v[186:187], off offset:656
	s_waitcnt vmcnt(2) lgkmcnt(0)
	v_mul_f64 v[182:183], v[180:181], v[148:149]
	v_mul_f64 v[148:149], v[178:179], v[148:149]
	v_fma_f64 v[178:179], v[178:179], v[146:147], -v[182:183]
	v_fma_f64 v[180:181], v[180:181], v[146:147], v[148:149]
	ds_read_b128 v[146:149], v133 offset:2496
	ds_read_b128 v[182:185], v133 offset:2704
	s_waitcnt vmcnt(1) lgkmcnt(1)
	v_mul_f64 v[188:189], v[148:149], v[156:157]
	v_mul_f64 v[156:157], v[146:147], v[156:157]
	v_fma_f64 v[146:147], v[146:147], v[154:155], -v[188:189]
	v_fma_f64 v[148:149], v[148:149], v[154:155], v[156:157]
	s_waitcnt vmcnt(0) lgkmcnt(0)
	v_mul_f64 v[154:155], v[184:185], v[160:161]
	v_mul_f64 v[156:157], v[182:183], v[160:161]
	v_fma_f64 v[154:155], v[182:183], v[158:159], -v[154:155]
	v_fma_f64 v[156:157], v[184:185], v[158:159], v[156:157]
	s_clause 0x1
	global_load_dwordx4 v[158:161], v[186:187], off offset:864
	global_load_dwordx4 v[182:185], v[186:187], off offset:1072
	ds_read_b128 v[186:189], v133 offset:2912
	ds_read_b128 v[190:193], v133 offset:3120
	s_waitcnt vmcnt(1) lgkmcnt(1)
	v_mul_f64 v[194:195], v[188:189], v[160:161]
	v_mul_f64 v[160:161], v[186:187], v[160:161]
	v_fma_f64 v[186:187], v[186:187], v[158:159], -v[194:195]
	v_fma_f64 v[188:189], v[188:189], v[158:159], v[160:161]
	s_waitcnt vmcnt(0) lgkmcnt(0)
	v_mul_f64 v[158:159], v[192:193], v[184:185]
	v_mul_f64 v[160:161], v[190:191], v[184:185]
	v_fma_f64 v[158:159], v[190:191], v[182:183], -v[158:159]
	v_fma_f64 v[160:161], v[192:193], v[182:183], v[160:161]
	ds_read_b128 v[182:185], v133 offset:3328
	s_waitcnt lgkmcnt(0)
	v_mul_f64 v[190:191], v[184:185], v[172:173]
	v_mul_f64 v[172:173], v[182:183], v[172:173]
	v_fma_f64 v[182:183], v[182:183], v[170:171], -v[190:191]
	v_fma_f64 v[184:185], v[184:185], v[170:171], v[172:173]
	ds_write_b128 v133, v[162:165]
	ds_write_b128 v133, v[166:169] offset:208
	ds_write_b128 v133, v[174:177] offset:416
	;; [unrolled: 1-line block ×16, first 2 shown]
.LBB0_9:
	s_or_b32 exec_lo, exec_lo, s1
	s_waitcnt lgkmcnt(0)
	s_barrier
	buffer_gl0_inv
	s_and_saveexec_b32 s0, vcc_lo
	s_cbranch_execz .LBB0_11
; %bb.10:
	ds_read_b128 v[72:75], v133
	ds_read_b128 v[64:67], v133 offset:208
	ds_read_b128 v[68:71], v133 offset:416
	;; [unrolled: 1-line block ×16, first 2 shown]
.LBB0_11:
	s_or_b32 exec_lo, exec_lo, s0
	s_waitcnt lgkmcnt(0)
	s_barrier
	buffer_gl0_inv
	s_and_saveexec_b32 s33, vcc_lo
	s_cbranch_execz .LBB0_13
; %bb.12:
	v_add_f64 v[116:117], v[74:75], v[66:67]
	v_add_f64 v[118:119], v[72:73], v[64:65]
	v_add_f64 v[138:139], v[64:65], -v[0:1]
	s_mov_b32 s24, 0xacd6c6b4
	s_mov_b32 s25, 0xbfc7851a
	v_add_f64 v[131:132], v[68:69], -v[4:5]
	v_add_f64 v[142:143], v[66:67], v[2:3]
	s_mov_b32 s34, 0x5d8e7cdc
	s_mov_b32 s0, 0x7faef3
	;; [unrolled: 1-line block ×4, first 2 shown]
	v_add_f64 v[129:130], v[70:71], -v[6:7]
	v_add_f64 v[140:141], v[66:67], -v[2:3]
	v_add_f64 v[144:145], v[64:65], v[0:1]
	s_mov_b32 s8, 0x370991
	s_mov_b32 s9, 0x3fedd6d0
	s_mov_b32 s36, 0x4363dd80
	s_mov_b32 s37, 0xbfe0d888
	s_mov_b32 s2, 0x910ea3b9
	s_mov_b32 s3, 0xbfeb34fa
	s_mov_b32 s28, 0x2a9d6da3
	s_mov_b32 s29, 0x3fe58eea
	v_add_f64 v[116:117], v[116:117], v[70:71]
	v_add_f64 v[118:119], v[118:119], v[68:69]
	s_mov_b32 s16, 0x75d4884
	s_mov_b32 s17, 0x3fe7a5f6
	;; [unrolled: 1-line block ×20, first 2 shown]
	v_add_f64 v[116:117], v[116:117], v[78:79]
	v_add_f64 v[118:119], v[118:119], v[76:77]
	s_mov_b32 s41, 0x3fe9895b
	s_mov_b32 s40, s26
	s_mov_b32 s39, 0xbfd71e95
	s_mov_b32 s38, s34
	s_mov_b32 s49, 0x3feec746
	s_mov_b32 s48, s46
	s_mov_b32 s53, 0xbfe58eea
	s_mov_b32 s52, s28
	s_mov_b32 s51, 0xbfeca52d
	s_mov_b32 s50, s42
	v_mul_f64 v[208:209], v[131:132], s[44:45]
	v_mov_b32_e32 v44, v228
	v_mov_b32_e32 v45, v229
	;; [unrolled: 1-line block ×9, first 2 shown]
	v_add_f64 v[116:117], v[116:117], v[90:91]
	v_add_f64 v[118:119], v[118:119], v[88:89]
	v_mov_b32_e32 v53, v241
	v_mov_b32_e32 v54, v242
	;; [unrolled: 1-line block ×11, first 2 shown]
	v_add_f64 v[116:117], v[116:117], v[98:99]
	v_add_f64 v[118:119], v[118:119], v[96:97]
	v_add_f64 v[116:117], v[116:117], v[106:107]
	v_add_f64 v[118:119], v[118:119], v[104:105]
	v_add_f64 v[116:117], v[116:117], v[114:115]
	v_add_f64 v[118:119], v[118:119], v[112:113]
	v_add_f64 v[121:122], v[116:117], v[110:111]
	v_add_f64 v[123:124], v[118:119], v[108:109]
	v_add_f64 v[116:117], v[110:111], v[102:103]
	v_add_f64 v[110:111], v[110:111], -v[102:103]
	v_add_f64 v[118:119], v[108:109], -v[100:101]
	v_add_f64 v[108:109], v[108:109], v[100:101]
	v_add_f64 v[125:126], v[121:122], v[102:103]
	;; [unrolled: 1-line block ×3, first 2 shown]
	v_add_f64 v[121:122], v[114:115], -v[94:95]
	v_add_f64 v[102:103], v[114:115], v[94:95]
	v_add_f64 v[123:124], v[112:113], -v[92:93]
	v_add_f64 v[100:101], v[112:113], v[92:93]
	v_add_f64 v[112:113], v[104:105], -v[84:85]
	v_mul_f64 v[156:157], v[118:119], s[30:31]
	v_mul_f64 v[158:159], v[110:111], s[30:31]
	;; [unrolled: 1-line block ×12, first 2 shown]
	v_add_f64 v[114:115], v[125:126], v[94:95]
	v_add_f64 v[125:126], v[127:128], v[92:93]
	;; [unrolled: 1-line block ×3, first 2 shown]
	v_add_f64 v[106:107], v[106:107], -v[86:87]
	v_add_f64 v[94:95], v[104:105], v[84:85]
	v_add_f64 v[104:105], v[96:97], -v[80:81]
	v_mul_f64 v[194:195], v[112:113], s[26:27]
	v_mul_f64 v[198:199], v[123:124], s[36:37]
	;; [unrolled: 1-line block ×5, first 2 shown]
	v_fma_f64 v[38:39], v[116:117], s[16:17], -v[36:37]
	v_add_f64 v[114:115], v[114:115], v[86:87]
	v_add_f64 v[125:126], v[125:126], v[84:85]
	;; [unrolled: 1-line block ×4, first 2 shown]
	v_add_f64 v[98:99], v[98:99], -v[82:83]
	v_add_f64 v[96:97], v[90:91], -v[14:15]
	v_mul_f64 v[190:191], v[104:105], s[46:47]
	v_mul_f64 v[196:197], v[106:107], s[26:27]
	;; [unrolled: 1-line block ×3, first 2 shown]
	v_fma_f64 v[30:31], v[102:103], s[10:11], -v[28:29]
	v_fma_f64 v[34:35], v[100:101], s[10:11], v[32:33]
	v_add_f64 v[127:128], v[114:115], v[82:83]
	v_add_f64 v[125:126], v[125:126], v[80:81]
	v_add_f64 v[114:115], v[88:89], -v[12:13]
	v_add_f64 v[80:81], v[88:89], v[12:13]
	v_add_f64 v[82:83], v[90:91], v[14:15]
	;; [unrolled: 1-line block ×4, first 2 shown]
	v_mul_f64 v[188:189], v[96:97], s[44:45]
	v_mul_f64 v[192:193], v[98:99], s[46:47]
	v_fma_f64 v[22:23], v[84:85], s[20:21], -v[20:21]
	v_add_f64 v[14:15], v[127:128], v[14:15]
	v_add_f64 v[12:13], v[125:126], v[12:13]
	v_add_f64 v[127:128], v[76:77], -v[8:9]
	v_add_f64 v[76:77], v[76:77], v[8:9]
	v_add_f64 v[125:126], v[78:79], -v[10:11]
	v_add_f64 v[78:79], v[78:79], v[10:11]
	v_mul_f64 v[186:187], v[114:115], s[44:45]
	v_mul_f64 v[16:17], v[114:115], s[34:35]
	v_add_f64 v[10:11], v[14:15], v[10:11]
	v_add_f64 v[8:9], v[12:13], v[8:9]
	v_mul_f64 v[12:13], v[140:141], s[24:25]
	v_mul_f64 v[14:15], v[129:130], s[34:35]
	;; [unrolled: 1-line block ×3, first 2 shown]
	v_fma_f64 v[18:19], v[82:83], s[8:9], -v[16:17]
	v_fma_f64 v[16:17], v[82:83], s[8:9], v[16:17]
	v_add_f64 v[6:7], v[10:11], v[6:7]
	v_add_f64 v[4:5], v[8:9], v[4:5]
	v_mul_f64 v[8:9], v[138:139], s[24:25]
	v_mul_f64 v[10:11], v[131:132], s[34:35]
	v_fma_f64 v[64:65], v[90:91], s[8:9], -v[14:15]
	v_add_f64 v[2:3], v[6:7], v[2:3]
	v_add_f64 v[0:1], v[4:5], v[0:1]
	v_fma_f64 v[4:5], v[142:143], s[0:1], v[8:9]
	v_fma_f64 v[6:7], v[88:89], s[8:9], v[10:11]
	v_fma_f64 v[8:9], v[142:143], s[0:1], -v[8:9]
	v_fma_f64 v[10:11], v[88:89], s[8:9], -v[10:11]
	buffer_store_dword v0, off, s[60:63], 0 offset:60 ; 4-byte Folded Spill
	buffer_store_dword v1, off, s[60:63], 0 offset:64 ; 4-byte Folded Spill
	;; [unrolled: 1-line block ×4, first 2 shown]
	v_add_f64 v[4:5], v[74:75], v[4:5]
	v_add_f64 v[8:9], v[74:75], v[8:9]
	;; [unrolled: 1-line block ×3, first 2 shown]
	v_fma_f64 v[6:7], v[144:145], s[0:1], -v[12:13]
	v_add_f64 v[8:9], v[10:11], v[8:9]
	v_fma_f64 v[10:11], v[144:145], s[0:1], v[12:13]
	v_fma_f64 v[12:13], v[90:91], s[8:9], v[14:15]
	;; [unrolled: 1-line block ×3, first 2 shown]
	v_add_f64 v[6:7], v[72:73], v[6:7]
	v_add_f64 v[10:11], v[72:73], v[10:11]
	;; [unrolled: 1-line block ×3, first 2 shown]
	v_mul_f64 v[64:65], v[127:128], s[36:37]
	v_add_f64 v[10:11], v[12:13], v[10:11]
	v_fma_f64 v[66:67], v[78:79], s[2:3], v[64:65]
	v_fma_f64 v[12:13], v[78:79], s[2:3], -v[64:65]
	v_mul_f64 v[64:65], v[138:139], s[36:37]
	v_add_f64 v[4:5], v[66:67], v[4:5]
	v_mul_f64 v[66:67], v[125:126], s[36:37]
	v_add_f64 v[8:9], v[12:13], v[8:9]
	v_fma_f64 v[68:69], v[76:77], s[2:3], -v[66:67]
	v_fma_f64 v[12:13], v[76:77], s[2:3], v[66:67]
	v_mul_f64 v[66:67], v[131:132], s[42:43]
	v_add_f64 v[6:7], v[68:69], v[6:7]
	v_mul_f64 v[68:69], v[114:115], s[28:29]
	v_add_f64 v[10:11], v[12:13], v[10:11]
	v_fma_f64 v[70:71], v[82:83], s[16:17], v[68:69]
	v_fma_f64 v[12:13], v[82:83], s[16:17], -v[68:69]
	v_mul_f64 v[68:69], v[140:141], s[36:37]
	v_add_f64 v[4:5], v[70:71], v[4:5]
	v_mul_f64 v[70:71], v[96:97], s[28:29]
	v_add_f64 v[8:9], v[12:13], v[8:9]
	v_fma_f64 v[134:135], v[80:81], s[16:17], -v[70:71]
	v_fma_f64 v[12:13], v[80:81], s[16:17], v[70:71]
	v_mul_f64 v[70:71], v[129:130], s[42:43]
	v_add_f64 v[6:7], v[134:135], v[6:7]
	v_mul_f64 v[134:135], v[104:105], s[26:27]
	v_add_f64 v[10:11], v[12:13], v[10:11]
	v_fma_f64 v[136:137], v[84:85], s[10:11], v[134:135]
	v_fma_f64 v[12:13], v[84:85], s[10:11], -v[134:135]
	v_fma_f64 v[134:135], v[90:91], s[20:21], -v[70:71]
	v_add_f64 v[4:5], v[136:137], v[4:5]
	v_mul_f64 v[136:137], v[98:99], s[26:27]
	v_add_f64 v[8:9], v[12:13], v[8:9]
	v_fma_f64 v[146:147], v[86:87], s[10:11], -v[136:137]
	v_fma_f64 v[12:13], v[86:87], s[10:11], v[136:137]
	v_add_f64 v[6:7], v[146:147], v[6:7]
	v_mul_f64 v[146:147], v[112:113], s[42:43]
	v_add_f64 v[10:11], v[12:13], v[10:11]
	v_fma_f64 v[148:149], v[92:93], s[20:21], v[146:147]
	v_fma_f64 v[12:13], v[92:93], s[20:21], -v[146:147]
	v_add_f64 v[4:5], v[148:149], v[4:5]
	v_mul_f64 v[148:149], v[106:107], s[42:43]
	v_add_f64 v[8:9], v[12:13], v[8:9]
	v_fma_f64 v[150:151], v[94:95], s[20:21], -v[148:149]
	v_fma_f64 v[12:13], v[94:95], s[20:21], v[148:149]
	v_add_f64 v[6:7], v[150:151], v[6:7]
	v_mul_f64 v[150:151], v[123:124], s[46:47]
	v_add_f64 v[10:11], v[12:13], v[10:11]
	v_fma_f64 v[152:153], v[102:103], s[18:19], v[150:151]
	v_fma_f64 v[12:13], v[102:103], s[18:19], -v[150:151]
	v_add_f64 v[4:5], v[152:153], v[4:5]
	v_mul_f64 v[152:153], v[121:122], s[46:47]
	v_add_f64 v[8:9], v[12:13], v[8:9]
	v_fma_f64 v[154:155], v[100:101], s[18:19], -v[152:153]
	v_fma_f64 v[12:13], v[100:101], s[18:19], v[152:153]
	v_add_f64 v[154:155], v[154:155], v[6:7]
	v_fma_f64 v[6:7], v[116:117], s[22:23], v[156:157]
	v_add_f64 v[12:13], v[12:13], v[10:11]
	v_fma_f64 v[10:11], v[116:117], s[22:23], -v[156:157]
	v_add_f64 v[2:3], v[6:7], v[4:5]
	v_fma_f64 v[4:5], v[108:109], s[22:23], -v[158:159]
	v_mul_f64 v[6:7], v[129:130], s[24:25]
	v_add_f64 v[0:1], v[4:5], v[154:155]
	buffer_store_dword v0, off, s[60:63], 0 offset:76 ; 4-byte Folded Spill
	buffer_store_dword v1, off, s[60:63], 0 offset:80 ; 4-byte Folded Spill
	;; [unrolled: 1-line block ×4, first 2 shown]
	v_add_f64 v[0:1], v[14:15], v[12:13]
	v_fma_f64 v[12:13], v[142:143], s[2:3], v[64:65]
	v_fma_f64 v[14:15], v[88:89], s[20:21], v[66:67]
	v_fma_f64 v[64:65], v[142:143], s[2:3], -v[64:65]
	v_fma_f64 v[66:67], v[88:89], s[20:21], -v[66:67]
	v_add_f64 v[2:3], v[10:11], v[8:9]
	v_mov_b32_e32 v8, v248
	buffer_store_dword v0, off, s[60:63], 0 offset:92 ; 4-byte Folded Spill
	buffer_store_dword v1, off, s[60:63], 0 offset:96 ; 4-byte Folded Spill
	;; [unrolled: 1-line block ×4, first 2 shown]
	v_add_f64 v[12:13], v[74:75], v[12:13]
	v_add_f64 v[64:65], v[74:75], v[64:65]
	v_mov_b32_e32 v9, v249
	v_mov_b32_e32 v10, v250
	;; [unrolled: 1-line block ×3, first 2 shown]
	v_add_f64 v[12:13], v[14:15], v[12:13]
	v_fma_f64 v[14:15], v[144:145], s[2:3], -v[68:69]
	v_add_f64 v[64:65], v[66:67], v[64:65]
	v_fma_f64 v[66:67], v[144:145], s[2:3], v[68:69]
	v_fma_f64 v[68:69], v[90:91], s[20:21], v[70:71]
	;; [unrolled: 1-line block ×3, first 2 shown]
	v_add_f64 v[14:15], v[72:73], v[14:15]
	v_add_f64 v[66:67], v[72:73], v[66:67]
	;; [unrolled: 1-line block ×3, first 2 shown]
	v_mul_f64 v[134:135], v[127:128], s[44:45]
	v_add_f64 v[66:67], v[68:69], v[66:67]
	v_fma_f64 v[136:137], v[78:79], s[22:23], v[134:135]
	v_fma_f64 v[68:69], v[78:79], s[22:23], -v[134:135]
	v_mul_f64 v[134:135], v[138:139], s[26:27]
	v_add_f64 v[12:13], v[136:137], v[12:13]
	v_mul_f64 v[136:137], v[125:126], s[44:45]
	v_add_f64 v[64:65], v[68:69], v[64:65]
	v_fma_f64 v[146:147], v[76:77], s[22:23], -v[136:137]
	v_fma_f64 v[68:69], v[76:77], s[22:23], v[136:137]
	v_mul_f64 v[136:137], v[131:132], s[48:49]
	v_add_f64 v[14:15], v[146:147], v[14:15]
	v_mul_f64 v[146:147], v[114:115], s[40:41]
	v_add_f64 v[66:67], v[68:69], v[66:67]
	v_fma_f64 v[148:149], v[82:83], s[10:11], v[146:147]
	v_fma_f64 v[68:69], v[82:83], s[10:11], -v[146:147]
	v_mul_f64 v[146:147], v[140:141], s[26:27]
	v_add_f64 v[12:13], v[148:149], v[12:13]
	v_mul_f64 v[148:149], v[96:97], s[40:41]
	v_add_f64 v[64:65], v[68:69], v[64:65]
	v_fma_f64 v[150:151], v[80:81], s[10:11], -v[148:149]
	v_fma_f64 v[68:69], v[80:81], s[10:11], v[148:149]
	v_mul_f64 v[148:149], v[129:130], s[48:49]
	v_add_f64 v[14:15], v[150:151], v[14:15]
	v_mul_f64 v[150:151], v[104:105], s[38:39]
	v_add_f64 v[66:67], v[68:69], v[66:67]
	v_fma_f64 v[152:153], v[84:85], s[8:9], v[150:151]
	v_fma_f64 v[68:69], v[84:85], s[8:9], -v[150:151]
	v_fma_f64 v[150:151], v[90:91], s[18:19], -v[148:149]
	v_add_f64 v[12:13], v[152:153], v[12:13]
	v_mul_f64 v[152:153], v[98:99], s[38:39]
	v_add_f64 v[64:65], v[68:69], v[64:65]
	v_fma_f64 v[154:155], v[86:87], s[8:9], -v[152:153]
	v_fma_f64 v[68:69], v[86:87], s[8:9], v[152:153]
	v_add_f64 v[14:15], v[154:155], v[14:15]
	v_mul_f64 v[154:155], v[112:113], s[24:25]
	v_add_f64 v[66:67], v[68:69], v[66:67]
	v_fma_f64 v[156:157], v[92:93], s[0:1], v[154:155]
	v_fma_f64 v[68:69], v[92:93], s[0:1], -v[154:155]
	v_add_f64 v[12:13], v[156:157], v[12:13]
	v_mul_f64 v[156:157], v[106:107], s[24:25]
	v_add_f64 v[64:65], v[68:69], v[64:65]
	v_fma_f64 v[158:159], v[94:95], s[0:1], -v[156:157]
	v_fma_f64 v[68:69], v[94:95], s[0:1], v[156:157]
	v_add_f64 v[14:15], v[158:159], v[14:15]
	v_mul_f64 v[158:159], v[123:124], s[28:29]
	v_add_f64 v[66:67], v[68:69], v[66:67]
	v_fma_f64 v[160:161], v[102:103], s[16:17], v[158:159]
	v_fma_f64 v[68:69], v[102:103], s[16:17], -v[158:159]
	v_add_f64 v[12:13], v[160:161], v[12:13]
	v_mul_f64 v[160:161], v[121:122], s[28:29]
	v_add_f64 v[64:65], v[68:69], v[64:65]
	v_fma_f64 v[162:163], v[100:101], s[16:17], -v[160:161]
	v_fma_f64 v[68:69], v[100:101], s[16:17], v[160:161]
	v_add_f64 v[162:163], v[162:163], v[14:15]
	v_fma_f64 v[14:15], v[116:117], s[18:19], v[164:165]
	v_add_f64 v[68:69], v[68:69], v[66:67]
	v_fma_f64 v[66:67], v[116:117], s[18:19], -v[164:165]
	v_add_f64 v[2:3], v[14:15], v[12:13]
	v_fma_f64 v[12:13], v[108:109], s[18:19], -v[166:167]
	v_mul_f64 v[14:15], v[110:111], s[36:37]
	v_add_f64 v[0:1], v[12:13], v[162:163]
	buffer_store_dword v0, off, s[60:63], 0 offset:108 ; 4-byte Folded Spill
	buffer_store_dword v1, off, s[60:63], 0 offset:112 ; 4-byte Folded Spill
	;; [unrolled: 1-line block ×4, first 2 shown]
	v_add_f64 v[0:1], v[70:71], v[68:69]
	v_fma_f64 v[68:69], v[142:143], s[10:11], v[134:135]
	v_fma_f64 v[70:71], v[88:89], s[18:19], v[136:137]
	v_fma_f64 v[134:135], v[142:143], s[10:11], -v[134:135]
	v_fma_f64 v[136:137], v[88:89], s[18:19], -v[136:137]
	v_add_f64 v[2:3], v[66:67], v[64:65]
	buffer_store_dword v0, off, s[60:63], 0 offset:124 ; 4-byte Folded Spill
	buffer_store_dword v1, off, s[60:63], 0 offset:128 ; 4-byte Folded Spill
	;; [unrolled: 1-line block ×4, first 2 shown]
	v_add_f64 v[68:69], v[74:75], v[68:69]
	v_add_f64 v[134:135], v[74:75], v[134:135]
	v_mov_b32_e32 v64, v224
	v_mov_b32_e32 v65, v225
	v_mov_b32_e32 v66, v226
	v_mov_b32_e32 v67, v227
	v_fma_f64 v[2:3], v[116:117], s[2:3], -v[40:41]
	v_add_f64 v[68:69], v[70:71], v[68:69]
	v_fma_f64 v[70:71], v[144:145], s[10:11], -v[146:147]
	v_add_f64 v[134:135], v[136:137], v[134:135]
	v_fma_f64 v[136:137], v[144:145], s[10:11], v[146:147]
	v_fma_f64 v[146:147], v[90:91], s[18:19], v[148:149]
	;; [unrolled: 1-line block ×3, first 2 shown]
	v_add_f64 v[70:71], v[72:73], v[70:71]
	v_add_f64 v[136:137], v[72:73], v[136:137]
	;; [unrolled: 1-line block ×3, first 2 shown]
	v_mul_f64 v[150:151], v[127:128], s[38:39]
	v_add_f64 v[136:137], v[146:147], v[136:137]
	v_fma_f64 v[152:153], v[78:79], s[8:9], v[150:151]
	v_fma_f64 v[146:147], v[78:79], s[8:9], -v[150:151]
	v_mul_f64 v[150:151], v[138:139], s[50:51]
	v_add_f64 v[68:69], v[152:153], v[68:69]
	v_mul_f64 v[152:153], v[125:126], s[38:39]
	v_add_f64 v[134:135], v[146:147], v[134:135]
	v_fma_f64 v[154:155], v[76:77], s[8:9], -v[152:153]
	v_fma_f64 v[146:147], v[76:77], s[8:9], v[152:153]
	v_mul_f64 v[152:153], v[138:139], s[52:53]
	v_add_f64 v[70:71], v[154:155], v[70:71]
	v_mul_f64 v[154:155], v[114:115], s[36:37]
	v_add_f64 v[136:137], v[146:147], v[136:137]
	v_fma_f64 v[156:157], v[82:83], s[2:3], v[154:155]
	v_fma_f64 v[146:147], v[82:83], s[2:3], -v[154:155]
	v_add_f64 v[68:69], v[156:157], v[68:69]
	v_mul_f64 v[156:157], v[96:97], s[36:37]
	v_add_f64 v[134:135], v[146:147], v[134:135]
	v_fma_f64 v[158:159], v[80:81], s[2:3], -v[156:157]
	v_fma_f64 v[146:147], v[80:81], s[2:3], v[156:157]
	v_add_f64 v[70:71], v[158:159], v[70:71]
	v_mul_f64 v[158:159], v[104:105], s[30:31]
	v_add_f64 v[136:137], v[146:147], v[136:137]
	v_fma_f64 v[160:161], v[84:85], s[22:23], v[158:159]
	v_fma_f64 v[146:147], v[84:85], s[22:23], -v[158:159]
	v_fma_f64 v[158:159], v[142:143], s[20:21], v[150:151]
	v_fma_f64 v[150:151], v[142:143], s[20:21], -v[150:151]
	v_add_f64 v[68:69], v[160:161], v[68:69]
	v_mul_f64 v[160:161], v[98:99], s[30:31]
	v_add_f64 v[134:135], v[146:147], v[134:135]
	v_fma_f64 v[162:163], v[86:87], s[22:23], -v[160:161]
	v_fma_f64 v[146:147], v[86:87], s[22:23], v[160:161]
	v_fma_f64 v[160:161], v[142:143], s[16:17], -v[152:153]
	v_fma_f64 v[152:153], v[142:143], s[16:17], v[152:153]
	v_add_f64 v[70:71], v[162:163], v[70:71]
	v_mul_f64 v[162:163], v[112:113], s[52:53]
	v_add_f64 v[136:137], v[146:147], v[136:137]
	v_add_f64 v[152:153], v[74:75], v[152:153]
	v_fma_f64 v[164:165], v[92:93], s[16:17], v[162:163]
	v_fma_f64 v[146:147], v[92:93], s[16:17], -v[162:163]
	v_add_f64 v[68:69], v[164:165], v[68:69]
	v_mul_f64 v[164:165], v[106:107], s[52:53]
	v_add_f64 v[134:135], v[146:147], v[134:135]
	v_fma_f64 v[166:167], v[94:95], s[16:17], -v[164:165]
	v_fma_f64 v[146:147], v[94:95], s[16:17], v[164:165]
	v_mul_f64 v[164:165], v[140:141], s[44:45]
	v_add_f64 v[70:71], v[166:167], v[70:71]
	v_mul_f64 v[166:167], v[123:124], s[24:25]
	v_add_f64 v[136:137], v[146:147], v[136:137]
	v_fma_f64 v[168:169], v[102:103], s[0:1], v[166:167]
	v_fma_f64 v[146:147], v[102:103], s[0:1], -v[166:167]
	v_mul_f64 v[166:167], v[140:141], s[50:51]
	v_add_f64 v[68:69], v[168:169], v[68:69]
	v_mul_f64 v[168:169], v[121:122], s[24:25]
	v_add_f64 v[134:135], v[146:147], v[134:135]
	v_fma_f64 v[146:147], v[100:101], s[0:1], v[168:169]
	v_fma_f64 v[170:171], v[100:101], s[0:1], -v[168:169]
	v_mul_f64 v[168:169], v[140:141], s[52:53]
	v_add_f64 v[146:147], v[146:147], v[136:137]
	v_fma_f64 v[136:137], v[116:117], s[20:21], -v[172:173]
	v_add_f64 v[170:171], v[170:171], v[70:71]
	v_fma_f64 v[70:71], v[116:117], s[20:21], v[172:173]
	v_fma_f64 v[172:173], v[144:145], s[22:23], -v[164:165]
	v_fma_f64 v[164:165], v[144:145], s[22:23], v[164:165]
	v_fma_f64 v[176:177], v[144:145], s[16:17], v[168:169]
	v_fma_f64 v[168:169], v[144:145], s[16:17], -v[168:169]
	v_add_f64 v[136:137], v[136:137], v[134:135]
	v_add_f64 v[134:135], v[148:149], v[146:147]
	v_mul_f64 v[146:147], v[138:139], s[46:47]
	v_mul_f64 v[148:149], v[138:139], s[44:45]
	;; [unrolled: 1-line block ×3, first 2 shown]
	v_add_f64 v[70:71], v[70:71], v[68:69]
	v_fma_f64 v[68:69], v[108:109], s[20:21], -v[174:175]
	v_fma_f64 v[174:175], v[144:145], s[20:21], -v[166:167]
	v_fma_f64 v[166:167], v[144:145], s[20:21], v[166:167]
	v_add_f64 v[172:173], v[72:73], v[172:173]
	v_add_f64 v[168:169], v[72:73], v[168:169]
	v_fma_f64 v[154:155], v[142:143], s[18:19], v[146:147]
	v_fma_f64 v[146:147], v[142:143], s[18:19], -v[146:147]
	v_fma_f64 v[156:157], v[142:143], s[22:23], v[148:149]
	v_fma_f64 v[148:149], v[142:143], s[22:23], -v[148:149]
	v_fma_f64 v[162:163], v[142:143], s[8:9], -v[138:139]
	v_fma_f64 v[138:139], v[142:143], s[8:9], v[138:139]
	v_mul_f64 v[142:143], v[140:141], s[46:47]
	v_mul_f64 v[140:141], v[140:141], s[38:39]
	v_add_f64 v[68:69], v[68:69], v[170:171]
	v_add_f64 v[0:1], v[72:73], v[174:175]
	buffer_store_dword v0, off, s[60:63], 0 offset:148 ; 4-byte Folded Spill
	buffer_store_dword v1, off, s[60:63], 0 offset:152 ; 4-byte Folded Spill
	v_fma_f64 v[170:171], v[144:145], s[18:19], -v[142:143]
	v_fma_f64 v[142:143], v[144:145], s[18:19], v[142:143]
	v_fma_f64 v[178:179], v[144:145], s[8:9], v[140:141]
	v_fma_f64 v[140:141], v[144:145], s[8:9], -v[140:141]
	v_add_f64 v[180:181], v[74:75], v[146:147]
	v_add_f64 v[146:147], v[74:75], v[148:149]
	;; [unrolled: 1-line block ×9, first 2 shown]
	s_mov_b32 s47, 0x3fe0d888
	s_mov_b32 s46, s36
	v_mov_b32_e32 v156, v232
	v_mov_b32_e32 v157, v233
	;; [unrolled: 1-line block ×4, first 2 shown]
	v_mul_f64 v[232:233], v[110:111], s[34:35]
	buffer_store_dword v0, off, s[60:63], 0 offset:140 ; 4-byte Folded Spill
	buffer_store_dword v1, off, s[60:63], 0 offset:144 ; 4-byte Folded Spill
	v_add_f64 v[182:183], v[72:73], v[142:143]
	v_add_f64 v[142:143], v[74:75], v[150:151]
	v_add_f64 v[150:151], v[74:75], v[160:161]
	v_add_f64 v[160:161], v[74:75], v[162:163]
	v_add_f64 v[162:163], v[72:73], v[178:179]
	v_mul_f64 v[178:179], v[131:132], s[52:53]
	v_add_f64 v[170:171], v[72:73], v[170:171]
	v_add_f64 v[42:43], v[72:73], v[140:141]
	v_fma_f64 v[72:73], v[88:89], s[16:17], -v[178:179]
	v_add_f64 v[72:73], v[72:73], v[160:161]
	v_mul_f64 v[160:161], v[129:130], s[52:53]
	v_fma_f64 v[74:75], v[90:91], s[16:17], v[160:161]
	v_add_f64 v[74:75], v[74:75], v[162:163]
	v_mul_f64 v[162:163], v[127:128], s[50:51]
	v_fma_f64 v[138:139], v[78:79], s[20:21], -v[162:163]
	v_add_f64 v[72:73], v[138:139], v[72:73]
	v_fma_f64 v[138:139], v[76:77], s[20:21], v[184:185]
	v_add_f64 v[74:75], v[138:139], v[74:75]
	v_fma_f64 v[138:139], v[82:83], s[22:23], -v[186:187]
	v_add_f64 v[72:73], v[138:139], v[72:73]
	v_fma_f64 v[138:139], v[80:81], s[22:23], v[188:189]
	v_add_f64 v[74:75], v[138:139], v[74:75]
	;; [unrolled: 4-line block ×6, first 2 shown]
	v_fma_f64 v[138:139], v[88:89], s[22:23], -v[208:209]
	v_add_f64 v[138:139], v[138:139], v[150:151]
	v_mul_f64 v[150:151], v[129:130], s[44:45]
	v_fma_f64 v[140:141], v[90:91], s[22:23], v[150:151]
	v_add_f64 v[140:141], v[140:141], v[166:167]
	v_mul_f64 v[166:167], v[127:128], s[26:27]
	v_fma_f64 v[210:211], v[78:79], s[10:11], -v[166:167]
	v_add_f64 v[138:139], v[210:211], v[138:139]
	v_mul_f64 v[210:211], v[125:126], s[26:27]
	v_fma_f64 v[212:213], v[76:77], s[10:11], v[210:211]
	v_add_f64 v[140:141], v[212:213], v[140:141]
	v_mul_f64 v[212:213], v[114:115], s[24:25]
	v_fma_f64 v[214:215], v[82:83], s[0:1], -v[212:213]
	v_add_f64 v[138:139], v[214:215], v[138:139]
	v_mul_f64 v[214:215], v[96:97], s[24:25]
	v_fma_f64 v[216:217], v[80:81], s[0:1], v[214:215]
	v_add_f64 v[140:141], v[216:217], v[140:141]
	v_mul_f64 v[216:217], v[104:105], s[46:47]
	v_fma_f64 v[218:219], v[84:85], s[2:3], -v[216:217]
	v_add_f64 v[138:139], v[218:219], v[138:139]
	v_mul_f64 v[218:219], v[98:99], s[46:47]
	v_fma_f64 v[220:221], v[86:87], s[2:3], v[218:219]
	v_add_f64 v[140:141], v[220:221], v[140:141]
	v_mul_f64 v[220:221], v[112:113], s[48:49]
	v_fma_f64 v[222:223], v[92:93], s[18:19], -v[220:221]
	v_add_f64 v[138:139], v[222:223], v[138:139]
	v_mul_f64 v[222:223], v[106:107], s[48:49]
	v_fma_f64 v[224:225], v[94:95], s[18:19], v[222:223]
	v_add_f64 v[140:141], v[224:225], v[140:141]
	v_mul_f64 v[224:225], v[123:124], s[42:43]
	v_fma_f64 v[226:227], v[102:103], s[20:21], -v[224:225]
	v_add_f64 v[138:139], v[226:227], v[138:139]
	v_mul_f64 v[226:227], v[121:122], s[42:43]
	s_mov_b32 s43, 0x3fc7851a
	s_mov_b32 s42, s24
	v_fma_f64 v[228:229], v[100:101], s[20:21], v[226:227]
	v_add_f64 v[228:229], v[228:229], v[140:141]
	v_fma_f64 v[140:141], v[116:117], s[8:9], -v[230:231]
	v_add_f64 v[140:141], v[140:141], v[138:139]
	v_fma_f64 v[138:139], v[108:109], s[8:9], v[232:233]
	v_add_f64 v[138:139], v[138:139], v[228:229]
	v_mul_f64 v[228:229], v[131:132], s[26:27]
	v_fma_f64 v[234:235], v[88:89], s[10:11], -v[228:229]
	v_add_f64 v[142:143], v[234:235], v[142:143]
	v_mul_f64 v[234:235], v[127:128], s[42:43]
	v_fma_f64 v[236:237], v[78:79], s[0:1], -v[234:235]
	v_add_f64 v[142:143], v[236:237], v[142:143]
	v_mul_f64 v[236:237], v[129:130], s[26:27]
	v_mul_f64 v[129:130], v[129:130], s[46:47]
	v_fma_f64 v[238:239], v[90:91], s[10:11], v[236:237]
	v_add_f64 v[144:145], v[238:239], v[144:145]
	v_mul_f64 v[238:239], v[114:115], s[48:49]
	v_mul_f64 v[114:115], v[114:115], s[50:51]
	v_fma_f64 v[240:241], v[82:83], s[18:19], -v[238:239]
	v_add_f64 v[142:143], v[240:241], v[142:143]
	v_mul_f64 v[240:241], v[125:126], s[42:43]
	v_fma_f64 v[242:243], v[76:77], s[0:1], v[240:241]
	v_add_f64 v[144:145], v[242:243], v[144:145]
	v_mul_f64 v[242:243], v[104:105], s[28:29]
	v_mul_f64 v[104:105], v[104:105], s[24:25]
	v_fma_f64 v[244:245], v[84:85], s[16:17], -v[242:243]
	v_add_f64 v[142:143], v[244:245], v[142:143]
	v_mul_f64 v[244:245], v[96:97], s[48:49]
	v_fma_f64 v[246:247], v[80:81], s[18:19], v[244:245]
	v_add_f64 v[144:145], v[246:247], v[144:145]
	v_mul_f64 v[246:247], v[112:113], s[38:39]
	v_fma_f64 v[248:249], v[92:93], s[8:9], -v[246:247]
	v_add_f64 v[142:143], v[248:249], v[142:143]
	v_mul_f64 v[248:249], v[98:99], s[28:29]
	v_fma_f64 v[250:251], v[86:87], s[16:17], v[248:249]
	v_add_f64 v[144:145], v[250:251], v[144:145]
	v_mul_f64 v[250:251], v[106:107], s[38:39]
	v_fma_f64 v[252:253], v[94:95], s[8:9], v[250:251]
	v_add_f64 v[144:145], v[252:253], v[144:145]
	v_mul_f64 v[252:253], v[123:124], s[44:45]
	v_mul_f64 v[123:124], v[123:124], s[38:39]
	v_fma_f64 v[254:255], v[102:103], s[22:23], -v[252:253]
	v_add_f64 v[142:143], v[254:255], v[142:143]
	v_mul_f64 v[254:255], v[121:122], s[44:45]
	v_mul_f64 v[121:122], v[121:122], s[38:39]
	v_fma_f64 v[176:177], v[100:101], s[22:23], v[254:255]
	v_add_f64 v[176:177], v[176:177], v[144:145]
	v_add_f64 v[144:145], v[2:3], v[142:143]
	v_fma_f64 v[142:143], v[108:109], s[2:3], v[14:15]
	v_mov_b32_e32 v0, v24
	v_mov_b32_e32 v1, v25
	;; [unrolled: 1-line block ×4, first 2 shown]
	v_mul_f64 v[24:25], v[112:113], s[36:37]
	v_mul_f64 v[112:113], v[112:113], s[30:31]
	v_add_f64 v[142:143], v[142:143], v[176:177]
	v_mul_f64 v[176:177], v[131:132], s[24:25]
	v_fma_f64 v[26:27], v[92:93], s[2:3], -v[24:25]
	v_fma_f64 v[174:175], v[88:89], s[0:1], -v[176:177]
	v_add_f64 v[146:147], v[174:175], v[146:147]
	v_mul_f64 v[174:175], v[127:128], s[48:49]
	v_mul_f64 v[127:128], v[127:128], s[28:29]
	v_fma_f64 v[4:5], v[78:79], s[18:19], -v[174:175]
	v_add_f64 v[4:5], v[4:5], v[146:147]
	v_fma_f64 v[146:147], v[90:91], s[0:1], v[6:7]
	v_fma_f64 v[6:7], v[90:91], s[0:1], -v[6:7]
	v_add_f64 v[4:5], v[18:19], v[4:5]
	v_mul_f64 v[18:19], v[125:126], s[48:49]
	v_add_f64 v[146:147], v[146:147], v[148:149]
	v_mul_f64 v[125:126], v[125:126], s[28:29]
	v_add_f64 v[6:7], v[6:7], v[172:173]
	v_add_f64 v[4:5], v[22:23], v[4:5]
	v_fma_f64 v[148:149], v[76:77], s[18:19], v[18:19]
	v_mul_f64 v[22:23], v[96:97], s[34:35]
	v_fma_f64 v[18:19], v[76:77], s[18:19], -v[18:19]
	v_add_f64 v[4:5], v[26:27], v[4:5]
	v_add_f64 v[146:147], v[148:149], v[146:147]
	v_fma_f64 v[148:149], v[80:81], s[8:9], v[22:23]
	v_mul_f64 v[26:27], v[98:99], s[50:51]
	v_add_f64 v[6:7], v[18:19], v[6:7]
	v_fma_f64 v[18:19], v[80:81], s[8:9], -v[22:23]
	v_add_f64 v[4:5], v[30:31], v[4:5]
	v_mul_f64 v[30:31], v[106:107], s[36:37]
	v_add_f64 v[146:147], v[148:149], v[146:147]
	v_fma_f64 v[148:149], v[86:87], s[20:21], v[26:27]
	v_mul_f64 v[106:107], v[106:107], s[30:31]
	v_add_f64 v[6:7], v[18:19], v[6:7]
	v_fma_f64 v[18:19], v[84:85], s[20:21], v[20:21]
	v_add_f64 v[146:147], v[148:149], v[146:147]
	v_fma_f64 v[148:149], v[94:95], s[2:3], v[30:31]
	v_add_f64 v[146:147], v[148:149], v[146:147]
	v_add_f64 v[148:149], v[38:39], v[4:5]
	v_mul_f64 v[4:5], v[110:111], s[28:29]
	v_mul_f64 v[110:111], v[110:111], s[26:27]
	v_add_f64 v[34:35], v[34:35], v[146:147]
	v_fma_f64 v[38:39], v[108:109], s[16:17], v[4:5]
	v_fma_f64 v[4:5], v[108:109], s[16:17], -v[4:5]
	v_add_f64 v[146:147], v[38:39], v[34:35]
	v_mul_f64 v[34:35], v[131:132], s[46:47]
	v_fma_f64 v[131:132], v[78:79], s[16:17], -v[127:128]
	v_fma_f64 v[38:39], v[88:89], s[2:3], -v[34:35]
	v_fma_f64 v[34:35], v[88:89], s[2:3], v[34:35]
	v_add_f64 v[38:39], v[38:39], v[180:181]
	v_fma_f64 v[180:181], v[102:103], s[8:9], -v[123:124]
	v_add_f64 v[34:35], v[34:35], v[154:155]
	v_add_f64 v[38:39], v[131:132], v[38:39]
	v_fma_f64 v[131:132], v[82:83], s[20:21], -v[114:115]
	v_fma_f64 v[114:115], v[82:83], s[20:21], v[114:115]
	v_add_f64 v[38:39], v[131:132], v[38:39]
	v_fma_f64 v[131:132], v[84:85], s[0:1], -v[104:105]
	v_fma_f64 v[104:105], v[84:85], s[0:1], v[104:105]
	v_add_f64 v[38:39], v[131:132], v[38:39]
	v_fma_f64 v[131:132], v[92:93], s[22:23], -v[112:113]
	v_add_f64 v[38:39], v[131:132], v[38:39]
	v_fma_f64 v[131:132], v[90:91], s[2:3], v[129:130]
	v_add_f64 v[38:39], v[180:181], v[38:39]
	v_add_f64 v[131:132], v[131:132], v[182:183]
	v_fma_f64 v[180:181], v[76:77], s[16:17], v[125:126]
	v_add_f64 v[131:132], v[180:181], v[131:132]
	v_mul_f64 v[180:181], v[96:97], s[50:51]
	v_fma_f64 v[96:97], v[80:81], s[20:21], v[180:181]
	v_add_f64 v[96:97], v[96:97], v[131:132]
	v_mul_f64 v[131:132], v[98:99], s[24:25]
	v_fma_f64 v[98:99], v[86:87], s[0:1], v[131:132]
	v_add_f64 v[96:97], v[98:99], v[96:97]
	v_fma_f64 v[98:99], v[94:95], s[22:23], v[106:107]
	v_add_f64 v[96:97], v[98:99], v[96:97]
	;; [unrolled: 2-line block ×3, first 2 shown]
	v_fma_f64 v[98:99], v[116:117], s[10:11], -v[118:119]
	v_add_f64 v[98:99], v[98:99], v[38:39]
	v_fma_f64 v[38:39], v[108:109], s[10:11], v[110:111]
	v_fma_f64 v[110:111], v[108:109], s[10:11], -v[110:111]
	v_add_f64 v[96:97], v[38:39], v[96:97]
	v_fma_f64 v[38:39], v[78:79], s[16:17], v[127:128]
	v_add_f64 v[34:35], v[38:39], v[34:35]
	v_fma_f64 v[38:39], v[90:91], s[2:3], -v[129:130]
	v_add_f64 v[34:35], v[114:115], v[34:35]
	v_add_f64 v[38:39], v[38:39], v[170:171]
	v_fma_f64 v[114:115], v[76:77], s[16:17], -v[125:126]
	v_add_f64 v[34:35], v[104:105], v[34:35]
	v_fma_f64 v[104:105], v[80:81], s[20:21], -v[180:181]
	v_add_f64 v[38:39], v[114:115], v[38:39]
	v_add_f64 v[38:39], v[104:105], v[38:39]
	v_fma_f64 v[104:105], v[92:93], s[22:23], v[112:113]
	v_add_f64 v[34:35], v[104:105], v[34:35]
	v_fma_f64 v[104:105], v[86:87], s[0:1], -v[131:132]
	v_add_f64 v[38:39], v[104:105], v[38:39]
	v_fma_f64 v[104:105], v[102:103], s[8:9], v[123:124]
	v_add_f64 v[34:35], v[104:105], v[34:35]
	v_fma_f64 v[104:105], v[94:95], s[22:23], -v[106:107]
	v_add_f64 v[38:39], v[104:105], v[38:39]
	v_fma_f64 v[104:105], v[100:101], s[8:9], -v[121:122]
	v_add_f64 v[38:39], v[104:105], v[38:39]
	v_fma_f64 v[104:105], v[116:117], s[10:11], v[118:119]
	v_add_f64 v[106:107], v[104:105], v[34:35]
	v_fma_f64 v[34:35], v[88:89], s[0:1], v[176:177]
	;; [unrolled: 2-line block ×3, first 2 shown]
	v_add_f64 v[34:35], v[34:35], v[12:13]
	v_add_f64 v[34:35], v[38:39], v[34:35]
	;; [unrolled: 1-line block ×4, first 2 shown]
	v_fma_f64 v[18:19], v[86:87], s[20:21], -v[26:27]
	v_add_f64 v[6:7], v[18:19], v[6:7]
	v_fma_f64 v[18:19], v[92:93], s[2:3], v[24:25]
	v_mov_b32_e32 v27, v3
	v_mov_b32_e32 v26, v2
	;; [unrolled: 1-line block ×4, first 2 shown]
	s_clause 0x1
	buffer_load_dword v0, off, s[60:63], 0 offset:148
	buffer_load_dword v1, off, s[60:63], 0 offset:152
	v_fma_f64 v[2:3], v[108:109], s[2:3], -v[14:15]
	v_add_f64 v[16:17], v[18:19], v[16:17]
	v_fma_f64 v[18:19], v[94:95], s[2:3], -v[30:31]
	v_add_f64 v[6:7], v[18:19], v[6:7]
	v_fma_f64 v[18:19], v[102:103], s[10:11], v[28:29]
	v_mov_b32_e32 v28, v60
	v_mov_b32_e32 v29, v61
	;; [unrolled: 1-line block ×4, first 2 shown]
	v_add_f64 v[16:17], v[18:19], v[16:17]
	v_fma_f64 v[18:19], v[100:101], s[10:11], -v[32:33]
	v_add_f64 v[6:7], v[18:19], v[6:7]
	v_fma_f64 v[18:19], v[116:117], s[16:17], v[36:37]
	v_add_f64 v[110:111], v[4:5], v[6:7]
	v_fma_f64 v[4:5], v[88:89], s[10:11], v[228:229]
	v_add_f64 v[112:113], v[18:19], v[16:17]
	v_fma_f64 v[6:7], v[90:91], s[10:11], -v[236:237]
	v_fma_f64 v[16:17], v[78:79], s[0:1], v[234:235]
	v_add_f64 v[4:5], v[4:5], v[164:165]
	v_add_f64 v[4:5], v[16:17], v[4:5]
	v_fma_f64 v[16:17], v[76:77], s[0:1], -v[240:241]
	s_waitcnt vmcnt(0)
	v_add_f64 v[6:7], v[6:7], v[0:1]
	v_fma_f64 v[0:1], v[116:117], s[2:3], v[40:41]
	v_add_f64 v[6:7], v[16:17], v[6:7]
	v_fma_f64 v[16:17], v[82:83], s[18:19], v[238:239]
	v_mov_b32_e32 v239, v51
	v_mov_b32_e32 v238, v50
	v_mov_b32_e32 v237, v49
	v_mov_b32_e32 v236, v48
	v_add_f64 v[4:5], v[16:17], v[4:5]
	v_fma_f64 v[16:17], v[80:81], s[18:19], -v[244:245]
	v_add_f64 v[6:7], v[16:17], v[6:7]
	v_fma_f64 v[16:17], v[84:85], s[16:17], v[242:243]
	v_mov_b32_e32 v243, v55
	v_mov_b32_e32 v242, v54
	v_mov_b32_e32 v241, v53
	v_mov_b32_e32 v240, v52
	v_add_f64 v[4:5], v[16:17], v[4:5]
	v_fma_f64 v[16:17], v[86:87], s[16:17], -v[248:249]
	;; [unrolled: 8-line block ×3, first 2 shown]
	v_mov_b32_e32 v251, v11
	v_mov_b32_e32 v250, v10
	;; [unrolled: 1-line block ×4, first 2 shown]
	v_add_f64 v[6:7], v[16:17], v[6:7]
	v_fma_f64 v[16:17], v[102:103], s[22:23], v[252:253]
	v_add_f64 v[4:5], v[16:17], v[4:5]
	v_fma_f64 v[16:17], v[100:101], s[22:23], -v[254:255]
	v_add_f64 v[123:124], v[0:1], v[4:5]
	v_add_f64 v[6:7], v[16:17], v[6:7]
	v_fma_f64 v[0:1], v[88:89], s[22:23], v[208:209]
	v_fma_f64 v[4:5], v[78:79], s[10:11], v[166:167]
	;; [unrolled: 1-line block ×3, first 2 shown]
	v_add_f64 v[121:122], v[2:3], v[6:7]
	v_add_f64 v[0:1], v[0:1], v[152:153]
	v_fma_f64 v[2:3], v[90:91], s[22:23], -v[150:151]
	v_fma_f64 v[6:7], v[108:109], s[8:9], -v[232:233]
	v_mov_b32_e32 v235, v159
	v_mov_b32_e32 v234, v158
	v_mov_b32_e32 v233, v157
	v_mov_b32_e32 v232, v156
	v_add_f64 v[0:1], v[4:5], v[0:1]
	v_add_f64 v[2:3], v[2:3], v[168:169]
	v_fma_f64 v[4:5], v[76:77], s[10:11], -v[210:211]
	v_add_f64 v[2:3], v[4:5], v[2:3]
	v_fma_f64 v[4:5], v[82:83], s[0:1], v[212:213]
	v_add_f64 v[0:1], v[4:5], v[0:1]
	v_fma_f64 v[4:5], v[80:81], s[0:1], -v[214:215]
	v_add_f64 v[2:3], v[4:5], v[2:3]
	v_fma_f64 v[4:5], v[84:85], s[2:3], v[216:217]
	;; [unrolled: 4-line block ×4, first 2 shown]
	v_add_f64 v[0:1], v[4:5], v[0:1]
	v_fma_f64 v[4:5], v[100:101], s[20:21], -v[226:227]
	v_mov_b32_e32 v227, v67
	v_mov_b32_e32 v226, v66
	;; [unrolled: 1-line block ×4, first 2 shown]
	v_add_f64 v[2:3], v[4:5], v[2:3]
	v_fma_f64 v[4:5], v[116:117], s[8:9], v[230:231]
	v_mov_b32_e32 v231, v47
	v_mov_b32_e32 v230, v46
	;; [unrolled: 1-line block ×4, first 2 shown]
	v_add_f64 v[125:126], v[6:7], v[2:3]
	s_clause 0x1
	buffer_load_dword v6, off, s[60:63], 0 offset:140
	buffer_load_dword v7, off, s[60:63], 0 offset:144
	v_add_f64 v[127:128], v[4:5], v[0:1]
	v_fma_f64 v[0:1], v[88:89], s[16:17], v[178:179]
	v_fma_f64 v[2:3], v[90:91], s[16:17], -v[160:161]
	v_fma_f64 v[4:5], v[78:79], s[20:21], v[162:163]
	v_add_f64 v[2:3], v[2:3], v[42:43]
	s_waitcnt vmcnt(0)
	v_add_f64 v[0:1], v[0:1], v[6:7]
	v_fma_f64 v[6:7], v[76:77], s[20:21], -v[184:185]
	v_add_f64 v[0:1], v[4:5], v[0:1]
	v_fma_f64 v[4:5], v[80:81], s[22:23], -v[188:189]
	v_add_f64 v[2:3], v[6:7], v[2:3]
	v_fma_f64 v[6:7], v[84:85], s[18:19], v[190:191]
	v_add_f64 v[0:1], v[16:17], v[0:1]
	v_fma_f64 v[16:17], v[86:87], s[18:19], -v[192:193]
	v_add_f64 v[2:3], v[4:5], v[2:3]
	v_fma_f64 v[4:5], v[92:93], s[10:11], v[194:195]
	;; [unrolled: 4-line block ×4, first 2 shown]
	v_add_f64 v[0:1], v[16:17], v[0:1]
	v_fma_f64 v[16:17], v[108:109], s[0:1], -v[206:207]
	v_add_f64 v[2:3], v[4:5], v[2:3]
	buffer_load_dword v4, off, s[60:63], 0  ; 4-byte Folded Reload
	v_add_f64 v[78:79], v[6:7], v[0:1]
	buffer_load_dword v0, off, s[60:63], 0 offset:4 ; 4-byte Folded Reload
	v_add_f64 v[76:77], v[16:17], v[2:3]
	s_waitcnt vmcnt(1)
	v_mul_lo_u16 v4, v4, 17
	v_and_b32_e32 v4, 0xffff, v4
	s_waitcnt vmcnt(0)
	v_lshl_add_u32 v0, v4, 4, v0
	s_clause 0x3
	buffer_load_dword v1, off, s[60:63], 0 offset:60
	buffer_load_dword v2, off, s[60:63], 0 offset:64
	;; [unrolled: 1-line block ×4, first 2 shown]
	s_waitcnt vmcnt(0)
	ds_write_b128 v0, v[1:4]
	ds_write_b128 v0, v[72:75] offset:16
	ds_write_b128 v0, v[138:141] offset:32
	;; [unrolled: 1-line block ×6, first 2 shown]
	s_clause 0x3
	buffer_load_dword v1, off, s[60:63], 0 offset:124
	buffer_load_dword v2, off, s[60:63], 0 offset:128
	buffer_load_dword v3, off, s[60:63], 0 offset:132
	buffer_load_dword v4, off, s[60:63], 0 offset:136
	s_waitcnt vmcnt(0)
	ds_write_b128 v0, v[1:4] offset:112
	s_clause 0x3
	buffer_load_dword v1, off, s[60:63], 0 offset:92
	buffer_load_dword v2, off, s[60:63], 0 offset:96
	buffer_load_dword v3, off, s[60:63], 0 offset:100
	buffer_load_dword v4, off, s[60:63], 0 offset:104
	s_waitcnt vmcnt(0)
	ds_write_b128 v0, v[1:4] offset:128
	;; [unrolled: 7-line block ×4, first 2 shown]
	ds_write_b128 v0, v[68:71] offset:176
	ds_write_b128 v0, v[104:107] offset:192
	;; [unrolled: 1-line block ×6, first 2 shown]
.LBB0_13:
	s_or_b32 exec_lo, exec_lo, s33
	s_waitcnt lgkmcnt(0)
	s_waitcnt_vscnt null, 0x0
	s_barrier
	buffer_gl0_inv
	ds_read_b128 v[4:7], v201 offset:272
	ds_read_b128 v[0:3], v201
	ds_read_b128 v[8:11], v201 offset:544
	ds_read_b128 v[12:15], v201 offset:816
	;; [unrolled: 1-line block ×11, first 2 shown]
	s_clause 0xb
	buffer_load_dword v56, off, s[60:63], 0 offset:40
	buffer_load_dword v57, off, s[60:63], 0 offset:44
	;; [unrolled: 1-line block ×12, first 2 shown]
	s_mov_b32 s2, 0x4267c47c
	s_mov_b32 s3, 0xbfddbe06
	;; [unrolled: 1-line block ×4, first 2 shown]
	s_waitcnt lgkmcnt(12)
	v_mul_f64 v[16:17], v[26:27], v[6:7]
	v_mul_f64 v[18:19], v[26:27], v[4:5]
	s_waitcnt lgkmcnt(10)
	v_mul_f64 v[20:21], v[30:31], v[10:11]
	v_mul_f64 v[22:23], v[30:31], v[8:9]
	s_waitcnt lgkmcnt(8)
	v_mul_f64 v[34:35], v[226:227], v[64:65]
	s_waitcnt lgkmcnt(7)
	v_mul_f64 v[36:37], v[246:247], v[70:71]
	v_mul_f64 v[42:43], v[246:247], v[68:69]
	s_waitcnt lgkmcnt(6)
	;; [unrolled: 5-line block ×3, first 2 shown]
	v_mul_f64 v[46:47], v[250:251], v[86:87]
	s_mov_b32 s9, 0x3fec55a7
	s_mov_b32 s16, 0x42a4c3d2
	;; [unrolled: 1-line block ×11, first 2 shown]
	v_fma_f64 v[16:17], v[24:25], v[4:5], v[16:17]
	v_fma_f64 v[6:7], v[24:25], v[6:7], -v[18:19]
	v_mul_f64 v[18:19], v[230:231], v[14:15]
	v_mul_f64 v[24:25], v[230:231], v[12:13]
	v_fma_f64 v[20:21], v[28:29], v[8:9], v[20:21]
	v_fma_f64 v[22:23], v[28:29], v[10:11], -v[22:23]
	v_mul_f64 v[28:29], v[226:227], v[66:67]
	v_fma_f64 v[34:35], v[224:225], v[66:67], -v[34:35]
	v_fma_f64 v[36:37], v[244:245], v[68:69], v[36:37]
	v_fma_f64 v[42:43], v[244:245], v[70:71], -v[42:43]
	v_fma_f64 v[46:47], v[248:249], v[84:85], v[46:47]
	s_mov_b32 s17, 0xbfea55e2
	s_mov_b32 s19, 0x3fe22d96
	;; [unrolled: 1-line block ×11, first 2 shown]
	v_add_f64 v[8:9], v[0:1], v[16:17]
	v_add_f64 v[10:11], v[2:3], v[6:7]
	v_fma_f64 v[12:13], v[228:229], v[12:13], v[18:19]
	v_fma_f64 v[14:15], v[228:229], v[14:15], -v[24:25]
	s_mov_b32 s11, 0x3fea55e2
	s_mov_b32 s25, 0x3fefc445
	v_fma_f64 v[28:29], v[224:225], v[64:65], v[28:29]
	s_mov_b32 s35, 0x3fedeba7
	s_mov_b32 s41, 0x3fe5384d
	;; [unrolled: 1-line block ×8, first 2 shown]
	v_add_f64 v[24:25], v[8:9], v[20:21]
	v_add_f64 v[68:69], v[28:29], v[46:47]
	;; [unrolled: 1-line block ×5, first 2 shown]
	s_waitcnt vmcnt(8) lgkmcnt(0)
	v_mul_f64 v[26:27], v[58:59], v[98:99]
	v_mul_f64 v[4:5], v[58:59], v[96:97]
	s_waitcnt vmcnt(4)
	v_mul_f64 v[30:31], v[54:55], v[94:95]
	v_mul_f64 v[32:33], v[54:55], v[92:93]
	;; [unrolled: 1-line block ×3, first 2 shown]
	s_waitcnt vmcnt(0)
	v_mul_f64 v[38:39], v[50:51], v[90:91]
	v_mul_f64 v[40:41], v[50:51], v[88:89]
	;; [unrolled: 1-line block ×4, first 2 shown]
	v_fma_f64 v[18:19], v[56:57], v[96:97], v[26:27]
	v_add_f64 v[26:27], v[10:11], v[22:23]
	v_fma_f64 v[62:63], v[56:57], v[98:99], -v[4:5]
	v_mul_f64 v[98:99], v[238:239], v[76:77]
	v_fma_f64 v[4:5], v[240:241], v[72:73], v[44:45]
	v_fma_f64 v[8:9], v[240:241], v[74:75], -v[54:55]
	v_fma_f64 v[38:39], v[48:49], v[88:89], v[38:39]
	v_fma_f64 v[40:41], v[48:49], v[90:91], -v[40:41]
	v_fma_f64 v[48:49], v[248:249], v[86:87], -v[50:51]
	;; [unrolled: 1-line block ×3, first 2 shown]
	v_fma_f64 v[30:31], v[52:53], v[92:93], v[30:31]
	v_fma_f64 v[52:53], v[232:233], v[80:81], v[100:101]
	v_fma_f64 v[54:55], v[232:233], v[82:83], -v[102:103]
	v_add_f64 v[72:73], v[28:29], -v[46:47]
	v_add_f64 v[56:57], v[16:17], v[18:19]
	v_add_f64 v[26:27], v[26:27], v[14:15]
	v_add_f64 v[44:45], v[6:7], -v[62:63]
	v_add_f64 v[50:51], v[6:7], v[62:63]
	v_fma_f64 v[6:7], v[236:237], v[76:77], v[58:59]
	v_fma_f64 v[10:11], v[236:237], v[78:79], -v[98:99]
	v_add_f64 v[24:25], v[24:25], v[4:5]
	v_add_f64 v[16:17], v[16:17], -v[18:19]
	v_add_f64 v[70:71], v[34:35], v[48:49]
	v_add_f64 v[60:61], v[22:23], v[32:33]
	v_add_f64 v[22:23], v[22:23], -v[32:33]
	v_add_f64 v[74:75], v[34:35], -v[48:49]
	v_add_f64 v[58:59], v[20:21], v[30:31]
	v_add_f64 v[66:67], v[14:15], v[40:41]
	v_add_f64 v[14:15], v[14:15], -v[40:41]
	v_add_f64 v[20:21], v[20:21], -v[30:31]
	v_add_f64 v[64:65], v[12:13], v[38:39]
	v_add_f64 v[12:13], v[12:13], -v[38:39]
	v_add_f64 v[26:27], v[26:27], v[34:35]
	v_mul_f64 v[76:77], v[44:45], s[2:3]
	v_mul_f64 v[78:79], v[50:51], s[8:9]
	;; [unrolled: 1-line block ×4, first 2 shown]
	v_add_f64 v[24:25], v[24:25], v[6:7]
	v_mul_f64 v[82:83], v[50:51], s[18:19]
	v_mul_f64 v[86:87], v[50:51], s[22:23]
	;; [unrolled: 1-line block ×16, first 2 shown]
	v_add_f64 v[26:27], v[26:27], v[42:43]
	v_fma_f64 v[140:141], v[56:57], s[8:9], v[76:77]
	v_fma_f64 v[142:143], v[16:17], s[0:1], v[78:79]
	;; [unrolled: 1-line block ×3, first 2 shown]
	v_fma_f64 v[84:85], v[56:57], s[22:23], -v[84:85]
	v_add_f64 v[24:25], v[24:25], v[52:53]
	v_mul_f64 v[108:109], v[22:23], s[24:25]
	v_mul_f64 v[110:111], v[60:61], s[22:23]
	;; [unrolled: 1-line block ×4, first 2 shown]
	v_fma_f64 v[76:77], v[56:57], s[8:9], -v[76:77]
	v_fma_f64 v[78:79], v[16:17], s[2:3], v[78:79]
	v_fma_f64 v[144:145], v[56:57], s[18:19], v[80:81]
	;; [unrolled: 1-line block ×3, first 2 shown]
	v_fma_f64 v[80:81], v[56:57], s[18:19], -v[80:81]
	v_fma_f64 v[82:83], v[16:17], s[16:17], v[82:83]
	v_fma_f64 v[150:151], v[16:17], s[24:25], v[86:87]
	;; [unrolled: 1-line block ×5, first 2 shown]
	v_fma_f64 v[88:89], v[56:57], s[28:29], -v[88:89]
	v_fma_f64 v[156:157], v[56:57], s[38:39], v[34:35]
	v_add_f64 v[26:27], v[26:27], v[8:9]
	v_fma_f64 v[158:159], v[16:17], s[40:41], v[90:91]
	v_fma_f64 v[34:35], v[56:57], s[38:39], -v[34:35]
	v_fma_f64 v[90:91], v[16:17], s[30:31], v[90:91]
	v_fma_f64 v[160:161], v[56:57], s[42:43], v[44:45]
	v_add_f64 v[24:25], v[24:25], v[46:47]
	v_fma_f64 v[162:163], v[16:17], s[44:45], v[50:51]
	v_fma_f64 v[44:45], v[56:57], s[42:43], -v[44:45]
	v_fma_f64 v[28:29], v[16:17], s[26:27], v[28:29]
	v_fma_f64 v[16:17], v[16:17], s[36:37], v[50:51]
	v_mul_f64 v[112:113], v[14:15], s[20:21]
	v_fma_f64 v[50:51], v[58:59], s[18:19], v[92:93]
	v_add_f64 v[140:141], v[0:1], v[140:141]
	v_mul_f64 v[114:115], v[66:67], s[22:23]
	v_mul_f64 v[121:122], v[14:15], s[34:35]
	v_fma_f64 v[56:57], v[20:21], s[10:11], v[94:95]
	v_fma_f64 v[168:169], v[58:59], s[42:43], v[100:101]
	v_fma_f64 v[100:101], v[58:59], s[42:43], -v[100:101]
	v_add_f64 v[142:143], v[2:3], v[142:143]
	v_add_f64 v[84:85], v[0:1], v[84:85]
	v_mul_f64 v[116:117], v[14:15], s[36:37]
	v_mul_f64 v[118:119], v[66:67], s[42:43]
	v_add_f64 v[26:27], v[26:27], v[10:11]
	v_mul_f64 v[123:124], v[66:67], s[28:29]
	v_mul_f64 v[125:126], v[14:15], s[0:1]
	v_mul_f64 v[127:128], v[66:67], s[8:9]
	v_mul_f64 v[129:130], v[14:15], s[16:17]
	v_add_f64 v[24:25], v[24:25], v[38:39]
	v_mul_f64 v[131:132], v[66:67], s[18:19]
	v_mul_f64 v[14:15], v[14:15], s[30:31]
	;; [unrolled: 1-line block ×3, first 2 shown]
	v_fma_f64 v[92:93], v[58:59], s[18:19], -v[92:93]
	v_fma_f64 v[94:95], v[20:21], s[16:17], v[94:95]
	v_fma_f64 v[164:165], v[58:59], s[28:29], v[96:97]
	;; [unrolled: 1-line block ×3, first 2 shown]
	v_fma_f64 v[96:97], v[58:59], s[28:29], -v[96:97]
	v_fma_f64 v[98:99], v[20:21], s[26:27], v[98:99]
	v_fma_f64 v[170:171], v[20:21], s[44:45], v[102:103]
	;; [unrolled: 1-line block ×5, first 2 shown]
	v_fma_f64 v[104:105], v[58:59], s[38:39], -v[104:105]
	v_fma_f64 v[178:179], v[20:21], s[20:21], v[110:111]
	v_fma_f64 v[180:181], v[58:59], s[8:9], v[22:23]
	v_add_f64 v[26:27], v[26:27], v[54:55]
	v_fma_f64 v[182:183], v[20:21], s[2:3], v[60:61]
	v_fma_f64 v[22:23], v[58:59], s[8:9], -v[22:23]
	v_add_f64 v[76:77], v[0:1], v[76:77]
	v_add_f64 v[78:79], v[2:3], v[78:79]
	;; [unrolled: 1-line block ×17, first 2 shown]
	v_fma_f64 v[106:107], v[20:21], s[40:41], v[106:107]
	v_fma_f64 v[110:111], v[20:21], s[24:25], v[110:111]
	v_add_f64 v[26:27], v[26:27], v[48:49]
	v_fma_f64 v[20:21], v[20:21], s[0:1], v[60:61]
	v_add_f64 v[28:29], v[2:3], v[28:29]
	v_add_f64 v[2:3], v[2:3], v[16:17]
	v_mul_f64 v[134:135], v[74:75], s[26:27]
	v_fma_f64 v[176:177], v[58:59], s[22:23], v[108:109]
	v_fma_f64 v[108:109], v[58:59], s[22:23], -v[108:109]
	v_fma_f64 v[58:59], v[64:65], s[22:23], v[112:113]
	v_add_f64 v[16:17], v[50:51], v[140:141]
	v_mul_f64 v[136:137], v[70:71], s[28:29]
	v_fma_f64 v[60:61], v[12:13], s[24:25], v[114:115]
	v_fma_f64 v[188:189], v[64:65], s[28:29], v[121:122]
	v_fma_f64 v[121:122], v[64:65], s[28:29], -v[121:122]
	v_add_f64 v[84:85], v[100:101], v[84:85]
	v_add_f64 v[24:25], v[24:25], v[30:31]
	v_mul_f64 v[138:139], v[74:75], s[40:41]
	v_fma_f64 v[112:113], v[64:65], s[22:23], -v[112:113]
	v_fma_f64 v[114:115], v[12:13], s[20:21], v[114:115]
	v_fma_f64 v[184:185], v[64:65], s[42:43], v[116:117]
	;; [unrolled: 1-line block ×3, first 2 shown]
	v_fma_f64 v[116:117], v[64:65], s[42:43], -v[116:117]
	v_fma_f64 v[118:119], v[12:13], s[36:37], v[118:119]
	v_add_f64 v[26:27], v[26:27], v[40:41]
	v_add_f64 v[40:41], v[0:1], v[160:161]
	;; [unrolled: 1-line block ×4, first 2 shown]
	v_fma_f64 v[190:191], v[12:13], s[26:27], v[123:124]
	v_fma_f64 v[123:124], v[12:13], s[34:35], v[123:124]
	;; [unrolled: 1-line block ×7, first 2 shown]
	v_add_f64 v[50:51], v[92:93], v[76:77]
	v_add_f64 v[56:57], v[94:95], v[78:79]
	;; [unrolled: 1-line block ×17, first 2 shown]
	v_fma_f64 v[14:15], v[64:65], s[38:39], -v[14:15]
	v_fma_f64 v[127:128], v[12:13], s[0:1], v[127:128]
	v_fma_f64 v[131:132], v[12:13], s[16:17], v[131:132]
	v_add_f64 v[20:21], v[20:21], v[2:3]
	v_fma_f64 v[12:13], v[12:13], s[30:31], v[66:67]
	v_add_f64 v[16:17], v[58:59], v[16:17]
	;; [unrolled: 2-line block ×3, first 2 shown]
	v_add_f64 v[0:1], v[24:25], v[18:19]
	v_add_f64 v[18:19], v[121:122], v[84:85]
	v_fma_f64 v[84:85], v[72:73], s[34:35], v[136:137]
	v_fma_f64 v[125:126], v[64:65], s[8:9], -v[125:126]
	v_fma_f64 v[196:197], v[64:65], s[18:19], v[129:130]
	v_fma_f64 v[129:130], v[64:65], s[18:19], -v[129:130]
	v_add_f64 v[50:51], v[112:113], v[50:51]
	v_add_f64 v[56:57], v[114:115], v[56:57]
	;; [unrolled: 1-line block ×3, first 2 shown]
	v_mul_f64 v[62:63], v[70:71], s[38:39]
	v_add_f64 v[58:59], v[184:185], v[76:77]
	v_add_f64 v[60:61], v[186:187], v[78:79]
	;; [unrolled: 1-line block ×10, first 2 shown]
	v_fma_f64 v[88:89], v[68:69], s[28:29], -v[134:135]
	v_fma_f64 v[92:93], v[72:73], s[26:27], v[136:137]
	v_mul_f64 v[94:95], v[74:75], s[0:1]
	v_mul_f64 v[96:97], v[70:71], s[8:9]
	v_add_f64 v[40:41], v[46:47], v[40:41]
	v_add_f64 v[46:47], v[48:49], v[90:91]
	v_fma_f64 v[48:49], v[68:69], s[38:39], v[138:139]
	v_mul_f64 v[90:91], v[74:75], s[20:21]
	v_mul_f64 v[98:99], v[70:71], s[22:23]
	v_add_f64 v[14:15], v[14:15], v[22:23]
	v_add_f64 v[22:23], v[42:43], -v[54:55]
	v_add_f64 v[12:13], v[12:13], v[20:21]
	v_add_f64 v[20:21], v[42:43], v[54:55]
	;; [unrolled: 1-line block ×4, first 2 shown]
	v_fma_f64 v[54:55], v[68:69], s[38:39], -v[138:139]
	v_mul_f64 v[66:67], v[70:71], s[42:43]
	v_add_f64 v[34:35], v[108:109], v[34:35]
	v_fma_f64 v[100:101], v[72:73], s[30:31], v[62:63]
	v_add_f64 v[42:43], v[84:85], v[44:45]
	v_mul_f64 v[44:45], v[74:75], s[44:45]
	v_fma_f64 v[62:63], v[72:73], s[40:41], v[62:63]
	v_add_f64 v[50:51], v[88:89], v[50:51]
	v_add_f64 v[56:57], v[92:93], v[56:57]
	v_fma_f64 v[84:85], v[68:69], s[8:9], v[94:95]
	v_fma_f64 v[88:89], v[72:73], s[2:3], v[96:97]
	v_fma_f64 v[92:93], v[68:69], s[8:9], -v[94:95]
	v_fma_f64 v[94:95], v[72:73], s[0:1], v[96:97]
	v_mul_f64 v[74:75], v[74:75], s[10:11]
	v_mul_f64 v[70:71], v[70:71], s[18:19]
	v_add_f64 v[48:49], v[48:49], v[58:59]
	v_fma_f64 v[58:59], v[68:69], s[22:23], v[90:91]
	v_fma_f64 v[96:97], v[72:73], s[24:25], v[98:99]
	v_add_f64 v[102:103], v[36:37], v[52:53]
	v_mul_f64 v[104:105], v[22:23], s[30:31]
	v_add_f64 v[36:37], v[36:37], -v[52:53]
	v_mul_f64 v[52:53], v[20:21], s[38:39]
	v_add_f64 v[30:31], v[125:126], v[30:31]
	v_add_f64 v[38:39], v[131:132], v[38:39]
	v_fma_f64 v[90:91], v[68:69], s[22:23], -v[90:91]
	v_add_f64 v[54:55], v[54:55], v[76:77]
	v_fma_f64 v[76:77], v[72:73], s[36:37], v[66:67]
	v_fma_f64 v[66:67], v[72:73], s[44:45], v[66:67]
	v_add_f64 v[28:29], v[106:107], v[28:29]
	v_add_f64 v[34:35], v[129:130], v[34:35]
	;; [unrolled: 1-line block ×3, first 2 shown]
	v_fma_f64 v[100:101], v[68:69], s[42:43], v[44:45]
	v_fma_f64 v[44:45], v[68:69], s[42:43], -v[44:45]
	v_add_f64 v[32:33], v[176:177], v[156:157]
	v_fma_f64 v[98:99], v[72:73], s[20:21], v[98:99]
	v_add_f64 v[62:63], v[62:63], v[78:79]
	v_add_f64 v[78:79], v[84:85], v[80:81]
	v_add_f64 v[80:81], v[88:89], v[82:83]
	v_fma_f64 v[82:83], v[68:69], s[18:19], v[74:75]
	v_fma_f64 v[84:85], v[72:73], s[16:17], v[70:71]
	v_fma_f64 v[68:69], v[68:69], s[18:19], -v[74:75]
	v_fma_f64 v[70:71], v[72:73], s[10:11], v[70:71]
	v_add_f64 v[26:27], v[58:59], v[26:27]
	v_add_f64 v[58:59], v[96:97], v[64:65]
	v_fma_f64 v[64:65], v[102:103], s[38:39], v[104:105]
	v_mul_f64 v[72:73], v[22:23], s[24:25]
	v_mul_f64 v[74:75], v[20:21], s[22:23]
	v_fma_f64 v[88:89], v[36:37], s[40:41], v[52:53]
	v_add_f64 v[18:19], v[92:93], v[18:19]
	v_mul_f64 v[92:93], v[20:21], s[18:19]
	v_add_f64 v[30:31], v[90:91], v[30:31]
	v_mul_f64 v[90:91], v[22:23], s[16:17]
	;; [unrolled: 2-line block ×3, first 2 shown]
	v_fma_f64 v[52:53], v[36:37], s[30:31], v[52:53]
	v_add_f64 v[28:29], v[127:128], v[28:29]
	v_add_f64 v[76:77], v[76:77], v[86:87]
	;; [unrolled: 1-line block ×3, first 2 shown]
	v_fma_f64 v[44:45], v[102:103], s[38:39], -v[104:105]
	v_mul_f64 v[86:87], v[20:21], s[42:43]
	v_add_f64 v[32:33], v[196:197], v[32:33]
	v_add_f64 v[24:25], v[94:95], v[24:25]
	;; [unrolled: 1-line block ×4, first 2 shown]
	v_add_f64 v[68:69], v[8:9], -v[10:11]
	v_add_f64 v[8:9], v[8:9], v[10:11]
	v_add_f64 v[10:11], v[64:65], v[16:17]
	v_fma_f64 v[16:17], v[102:103], s[22:23], v[72:73]
	v_fma_f64 v[64:65], v[36:37], s[20:21], v[74:75]
	v_fma_f64 v[70:71], v[102:103], s[22:23], -v[72:73]
	v_fma_f64 v[72:73], v[36:37], s[24:25], v[74:75]
	v_mul_f64 v[74:75], v[22:23], s[0:1]
	v_add_f64 v[42:43], v[88:89], v[42:43]
	v_mul_f64 v[88:89], v[20:21], s[8:9]
	v_add_f64 v[46:47], v[84:85], v[46:47]
	v_fma_f64 v[84:85], v[36:37], s[10:11], v[92:93]
	v_fma_f64 v[92:93], v[36:37], s[16:17], v[92:93]
	v_add_f64 v[40:41], v[82:83], v[40:41]
	v_fma_f64 v[82:83], v[102:103], s[18:19], v[90:91]
	v_add_f64 v[52:53], v[52:53], v[56:57]
	v_mul_f64 v[22:23], v[22:23], s[26:27]
	v_mul_f64 v[20:21], v[20:21], s[28:29]
	v_add_f64 v[56:57], v[4:5], v[6:7]
	v_add_f64 v[96:97], v[4:5], -v[6:7]
	v_fma_f64 v[4:5], v[102:103], s[42:43], -v[66:67]
	v_add_f64 v[28:29], v[98:99], v[28:29]
	v_add_f64 v[44:45], v[44:45], v[50:51]
	v_fma_f64 v[50:51], v[102:103], s[42:43], v[66:67]
	v_fma_f64 v[94:95], v[36:37], s[36:37], v[86:87]
	;; [unrolled: 1-line block ×3, first 2 shown]
	v_add_f64 v[32:33], v[100:101], v[32:33]
	v_fma_f64 v[90:91], v[102:103], s[18:19], -v[90:91]
	v_mul_f64 v[98:99], v[68:69], s[36:37]
	v_add_f64 v[16:17], v[16:17], v[48:49]
	v_add_f64 v[48:49], v[64:65], v[60:61]
	v_add_f64 v[60:61], v[72:73], v[62:63]
	v_fma_f64 v[62:63], v[102:103], s[8:9], v[74:75]
	v_mul_f64 v[100:101], v[8:9], s[42:43]
	v_add_f64 v[54:55], v[70:71], v[54:55]
	v_fma_f64 v[70:71], v[36:37], s[2:3], v[88:89]
	v_add_f64 v[72:73], v[92:93], v[24:25]
	v_fma_f64 v[24:25], v[102:103], s[8:9], -v[74:75]
	v_add_f64 v[64:65], v[82:83], v[78:79]
	v_add_f64 v[66:67], v[84:85], v[80:81]
	v_fma_f64 v[74:75], v[102:103], s[28:29], v[22:23]
	v_fma_f64 v[78:79], v[36:37], s[34:35], v[20:21]
	v_fma_f64 v[22:23], v[102:103], s[28:29], -v[22:23]
	v_fma_f64 v[20:21], v[36:37], s[26:27], v[20:21]
	v_add_f64 v[82:83], v[4:5], v[30:31]
	v_mul_f64 v[30:31], v[68:69], s[0:1]
	v_mul_f64 v[84:85], v[8:9], s[8:9]
	v_add_f64 v[26:27], v[50:51], v[26:27]
	v_add_f64 v[50:51], v[94:95], v[58:59]
	v_fma_f64 v[58:59], v[36:37], s[0:1], v[88:89]
	v_add_f64 v[86:87], v[6:7], v[28:29]
	v_mul_f64 v[28:29], v[68:69], s[30:31]
	v_mul_f64 v[88:89], v[8:9], s[38:39]
	v_add_f64 v[18:19], v[90:91], v[18:19]
	v_fma_f64 v[36:37], v[56:57], s[42:43], v[98:99]
	v_add_f64 v[62:63], v[62:63], v[32:33]
	v_mul_f64 v[32:33], v[68:69], s[10:11]
	v_mul_f64 v[90:91], v[8:9], s[18:19]
	v_fma_f64 v[80:81], v[96:97], s[44:45], v[100:101]
	v_add_f64 v[70:71], v[70:71], v[76:77]
	v_mul_f64 v[76:77], v[68:69], s[26:27]
	v_mul_f64 v[92:93], v[8:9], s[28:29]
	v_add_f64 v[34:35], v[24:25], v[34:35]
	v_mul_f64 v[24:25], v[68:69], s[24:25]
	v_mul_f64 v[8:9], v[8:9], s[22:23]
	v_add_f64 v[68:69], v[74:75], v[40:41]
	v_add_f64 v[46:47], v[78:79], v[46:47]
	;; [unrolled: 1-line block ×4, first 2 shown]
	v_fma_f64 v[12:13], v[56:57], s[8:9], v[30:31]
	v_fma_f64 v[14:15], v[96:97], s[2:3], v[84:85]
	v_fma_f64 v[20:21], v[56:57], s[8:9], -v[30:31]
	v_add_f64 v[58:59], v[58:59], v[38:39]
	v_fma_f64 v[22:23], v[56:57], s[38:39], v[28:29]
	v_fma_f64 v[30:31], v[96:97], s[40:41], v[88:89]
	v_fma_f64 v[28:29], v[56:57], s[38:39], -v[28:29]
	v_add_f64 v[4:5], v[36:37], v[10:11]
	v_fma_f64 v[10:11], v[56:57], s[42:43], -v[98:99]
	v_fma_f64 v[36:37], v[56:57], s[18:19], v[32:33]
	v_fma_f64 v[38:39], v[96:97], s[16:17], v[90:91]
	v_add_f64 v[6:7], v[80:81], v[42:43]
	v_fma_f64 v[32:33], v[56:57], s[18:19], -v[32:33]
	v_fma_f64 v[40:41], v[56:57], s[28:29], v[76:77]
	v_fma_f64 v[42:43], v[96:97], s[34:35], v[92:93]
	v_fma_f64 v[76:77], v[56:57], s[28:29], -v[76:77]
	v_fma_f64 v[80:81], v[56:57], s[22:23], v[24:25]
	v_fma_f64 v[94:95], v[96:97], s[20:21], v[8:9]
	;; [unrolled: 3-line block ×3, first 2 shown]
	v_fma_f64 v[90:91], v[96:97], s[10:11], v[90:91]
	v_fma_f64 v[88:89], v[96:97], s[30:31], v[88:89]
	;; [unrolled: 1-line block ×4, first 2 shown]
	v_add_f64 v[12:13], v[12:13], v[16:17]
	v_add_f64 v[14:15], v[14:15], v[48:49]
	;; [unrolled: 1-line block ×22, first 2 shown]
	ds_write_b128 v133, v[0:3]
	ds_write_b128 v133, v[4:7] offset:272
	ds_write_b128 v133, v[12:15] offset:544
	;; [unrolled: 1-line block ×12, first 2 shown]
	s_waitcnt lgkmcnt(0)
	s_barrier
	buffer_gl0_inv
	s_and_b32 exec_lo, exec_lo, vcc_lo
	s_cbranch_execz .LBB0_15
; %bb.14:
	buffer_load_dword v16, off, s[60:63], 0 ; 4-byte Folded Reload
	v_mad_u64_u32 v[14:15], null, s6, v120, 0
	s_mov_b32 s0, 0x1288b013
	s_mov_b32 s1, 0x3f7288b0
	s_mul_i32 s2, s5, 0xd0
	s_mul_hi_u32 s6, s4, 0xd0
	s_mul_i32 s3, s4, 0xd0
	s_add_i32 s2, s6, s2
	s_waitcnt vmcnt(0)
	v_lshlrev_b32_e32 v18, 4, v16
	global_load_dwordx4 v[0:3], v18, s[12:13]
	ds_read_b128 v[4:7], v133
	ds_read_b128 v[8:11], v133 offset:208
	s_waitcnt vmcnt(0) lgkmcnt(1)
	v_mul_f64 v[12:13], v[6:7], v[2:3]
	v_mul_f64 v[2:3], v[4:5], v[2:3]
	v_fma_f64 v[4:5], v[4:5], v[0:1], v[12:13]
	v_fma_f64 v[0:1], v[0:1], v[6:7], -v[2:3]
	v_mad_u64_u32 v[6:7], null, s4, v16, 0
	v_mov_b32_e32 v2, v15
	v_mov_b32_e32 v3, v7
	v_mad_u64_u32 v[12:13], null, s7, v120, v[2:3]
	v_mad_u64_u32 v[16:17], null, s5, v16, v[3:4]
	v_mov_b32_e32 v15, v12
	v_mul_f64 v[2:3], v[4:5], s[0:1]
	v_mul_f64 v[4:5], v[0:1], s[0:1]
	v_lshlrev_b64 v[0:1], 4, v[14:15]
	v_mov_b32_e32 v7, v16
	v_add_co_u32 v0, vcc_lo, s14, v0
	v_lshlrev_b64 v[6:7], 4, v[6:7]
	v_add_co_ci_u32_e32 v1, vcc_lo, s15, v1, vcc_lo
	v_add_co_u32 v6, vcc_lo, v0, v6
	v_add_co_ci_u32_e32 v7, vcc_lo, v1, v7, vcc_lo
	v_add_co_u32 v14, vcc_lo, v6, s3
	global_store_dwordx4 v[6:7], v[2:5], off
	global_load_dwordx4 v[2:5], v18, s[12:13] offset:208
	v_add_co_ci_u32_e32 v15, vcc_lo, s2, v7, vcc_lo
	s_waitcnt vmcnt(0) lgkmcnt(0)
	v_mul_f64 v[12:13], v[10:11], v[4:5]
	v_mul_f64 v[4:5], v[8:9], v[4:5]
	v_fma_f64 v[8:9], v[8:9], v[2:3], v[12:13]
	v_fma_f64 v[4:5], v[2:3], v[10:11], -v[4:5]
	v_mul_f64 v[2:3], v[8:9], s[0:1]
	v_mul_f64 v[4:5], v[4:5], s[0:1]
	global_store_dwordx4 v[14:15], v[2:5], off
	global_load_dwordx4 v[2:5], v18, s[12:13] offset:416
	ds_read_b128 v[6:9], v133 offset:416
	ds_read_b128 v[10:13], v133 offset:624
	s_waitcnt vmcnt(0) lgkmcnt(1)
	v_mul_f64 v[16:17], v[8:9], v[4:5]
	v_mul_f64 v[4:5], v[6:7], v[4:5]
	v_fma_f64 v[6:7], v[6:7], v[2:3], v[16:17]
	v_fma_f64 v[4:5], v[2:3], v[8:9], -v[4:5]
	v_mul_f64 v[2:3], v[6:7], s[0:1]
	v_mul_f64 v[4:5], v[4:5], s[0:1]
	v_add_co_u32 v6, vcc_lo, v14, s3
	v_add_co_ci_u32_e32 v7, vcc_lo, s2, v15, vcc_lo
	v_add_co_u32 v14, vcc_lo, v6, s3
	v_add_co_ci_u32_e32 v15, vcc_lo, s2, v7, vcc_lo
	global_store_dwordx4 v[6:7], v[2:5], off
	global_load_dwordx4 v[2:5], v18, s[12:13] offset:624
	s_waitcnt vmcnt(0) lgkmcnt(0)
	v_mul_f64 v[8:9], v[12:13], v[4:5]
	v_mul_f64 v[4:5], v[10:11], v[4:5]
	v_fma_f64 v[8:9], v[10:11], v[2:3], v[8:9]
	v_fma_f64 v[4:5], v[2:3], v[12:13], -v[4:5]
	v_mul_f64 v[2:3], v[8:9], s[0:1]
	v_mul_f64 v[4:5], v[4:5], s[0:1]
	global_store_dwordx4 v[14:15], v[2:5], off
	global_load_dwordx4 v[2:5], v18, s[12:13] offset:832
	ds_read_b128 v[6:9], v133 offset:832
	ds_read_b128 v[10:13], v133 offset:1040
	s_waitcnt vmcnt(0) lgkmcnt(1)
	v_mul_f64 v[16:17], v[8:9], v[4:5]
	v_mul_f64 v[4:5], v[6:7], v[4:5]
	v_fma_f64 v[6:7], v[6:7], v[2:3], v[16:17]
	v_fma_f64 v[4:5], v[2:3], v[8:9], -v[4:5]
	v_mul_f64 v[2:3], v[6:7], s[0:1]
	v_mul_f64 v[4:5], v[4:5], s[0:1]
	v_add_co_u32 v6, vcc_lo, v14, s3
	v_add_co_ci_u32_e32 v7, vcc_lo, s2, v15, vcc_lo
	v_add_co_u32 v14, vcc_lo, v6, s3
	v_add_co_ci_u32_e32 v15, vcc_lo, s2, v7, vcc_lo
	global_store_dwordx4 v[6:7], v[2:5], off
	global_load_dwordx4 v[2:5], v18, s[12:13] offset:1040
	;; [unrolled: 24-line block ×4, first 2 shown]
	s_waitcnt vmcnt(0) lgkmcnt(0)
	v_mul_f64 v[8:9], v[12:13], v[4:5]
	v_mul_f64 v[4:5], v[10:11], v[4:5]
	v_fma_f64 v[8:9], v[10:11], v[2:3], v[8:9]
	v_fma_f64 v[4:5], v[2:3], v[12:13], -v[4:5]
	v_mul_f64 v[2:3], v[8:9], s[0:1]
	v_mul_f64 v[4:5], v[4:5], s[0:1]
	v_add_co_u32 v8, s6, s12, v18
	v_add_co_ci_u32_e64 v9, null, s13, 0, s6
	v_add_co_u32 v16, vcc_lo, 0x800, v8
	v_add_co_ci_u32_e32 v17, vcc_lo, 0, v9, vcc_lo
	global_store_dwordx4 v[14:15], v[2:5], off
	global_load_dwordx4 v[2:5], v[16:17], off offset:32
	ds_read_b128 v[6:9], v133 offset:2080
	ds_read_b128 v[10:13], v133 offset:2288
	s_waitcnt vmcnt(0) lgkmcnt(1)
	v_mul_f64 v[18:19], v[8:9], v[4:5]
	v_mul_f64 v[4:5], v[6:7], v[4:5]
	v_fma_f64 v[6:7], v[6:7], v[2:3], v[18:19]
	v_fma_f64 v[4:5], v[2:3], v[8:9], -v[4:5]
	v_mul_f64 v[2:3], v[6:7], s[0:1]
	v_mul_f64 v[4:5], v[4:5], s[0:1]
	v_add_co_u32 v6, vcc_lo, v14, s3
	v_add_co_ci_u32_e32 v7, vcc_lo, s2, v15, vcc_lo
	v_add_co_u32 v14, vcc_lo, v6, s3
	v_add_co_ci_u32_e32 v15, vcc_lo, s2, v7, vcc_lo
	global_store_dwordx4 v[6:7], v[2:5], off
	global_load_dwordx4 v[2:5], v[16:17], off offset:240
	s_waitcnt vmcnt(0) lgkmcnt(0)
	v_mul_f64 v[8:9], v[12:13], v[4:5]
	v_mul_f64 v[4:5], v[10:11], v[4:5]
	v_fma_f64 v[8:9], v[10:11], v[2:3], v[8:9]
	v_fma_f64 v[4:5], v[2:3], v[12:13], -v[4:5]
	v_mul_f64 v[2:3], v[8:9], s[0:1]
	v_mul_f64 v[4:5], v[4:5], s[0:1]
	global_store_dwordx4 v[14:15], v[2:5], off
	global_load_dwordx4 v[2:5], v[16:17], off offset:448
	ds_read_b128 v[6:9], v133 offset:2496
	ds_read_b128 v[10:13], v133 offset:2704
	s_waitcnt vmcnt(0) lgkmcnt(1)
	v_mul_f64 v[18:19], v[8:9], v[4:5]
	v_mul_f64 v[4:5], v[6:7], v[4:5]
	v_fma_f64 v[6:7], v[6:7], v[2:3], v[18:19]
	v_fma_f64 v[4:5], v[2:3], v[8:9], -v[4:5]
	v_mul_f64 v[2:3], v[6:7], s[0:1]
	v_mul_f64 v[4:5], v[4:5], s[0:1]
	v_add_co_u32 v6, vcc_lo, v14, s3
	v_add_co_ci_u32_e32 v7, vcc_lo, s2, v15, vcc_lo
	v_add_co_u32 v14, vcc_lo, v6, s3
	v_add_co_ci_u32_e32 v15, vcc_lo, s2, v7, vcc_lo
	global_store_dwordx4 v[6:7], v[2:5], off
	global_load_dwordx4 v[2:5], v[16:17], off offset:656
	s_waitcnt vmcnt(0) lgkmcnt(0)
	v_mul_f64 v[8:9], v[12:13], v[4:5]
	v_mul_f64 v[4:5], v[10:11], v[4:5]
	v_fma_f64 v[8:9], v[10:11], v[2:3], v[8:9]
	v_fma_f64 v[4:5], v[2:3], v[12:13], -v[4:5]
	v_mul_f64 v[2:3], v[8:9], s[0:1]
	v_mul_f64 v[4:5], v[4:5], s[0:1]
	global_store_dwordx4 v[14:15], v[2:5], off
	global_load_dwordx4 v[2:5], v[16:17], off offset:864
	ds_read_b128 v[6:9], v133 offset:2912
	ds_read_b128 v[10:13], v133 offset:3120
	s_waitcnt vmcnt(0) lgkmcnt(1)
	v_mul_f64 v[18:19], v[8:9], v[4:5]
	v_mul_f64 v[4:5], v[6:7], v[4:5]
	v_fma_f64 v[6:7], v[6:7], v[2:3], v[18:19]
	v_fma_f64 v[4:5], v[2:3], v[8:9], -v[4:5]
	v_mul_f64 v[2:3], v[6:7], s[0:1]
	v_mul_f64 v[4:5], v[4:5], s[0:1]
	v_add_co_u32 v6, vcc_lo, v14, s3
	v_add_co_ci_u32_e32 v7, vcc_lo, s2, v15, vcc_lo
	global_store_dwordx4 v[6:7], v[2:5], off
	global_load_dwordx4 v[2:5], v[16:17], off offset:1072
	v_add_co_u32 v6, vcc_lo, v6, s3
	v_add_co_ci_u32_e32 v7, vcc_lo, s2, v7, vcc_lo
	s_waitcnt vmcnt(0) lgkmcnt(0)
	v_mul_f64 v[8:9], v[12:13], v[4:5]
	v_mul_f64 v[4:5], v[10:11], v[4:5]
	v_fma_f64 v[8:9], v[10:11], v[2:3], v[8:9]
	v_fma_f64 v[4:5], v[2:3], v[12:13], -v[4:5]
	buffer_load_dword v12, off, s[60:63], 0 offset:56 ; 4-byte Folded Reload
	v_mul_f64 v[2:3], v[8:9], s[0:1]
	v_mul_f64 v[4:5], v[4:5], s[0:1]
	global_store_dwordx4 v[6:7], v[2:5], off
	s_waitcnt vmcnt(0)
	v_lshlrev_b32_e32 v8, 4, v12
	global_load_dwordx4 v[2:5], v8, s[12:13]
	ds_read_b128 v[6:9], v133 offset:3328
	s_waitcnt vmcnt(0) lgkmcnt(0)
	v_mul_f64 v[10:11], v[8:9], v[4:5]
	v_mul_f64 v[4:5], v[6:7], v[4:5]
	v_fma_f64 v[6:7], v[6:7], v[2:3], v[10:11]
	v_fma_f64 v[4:5], v[2:3], v[8:9], -v[4:5]
	v_mad_u64_u32 v[8:9], null, s4, v12, 0
	v_mov_b32_e32 v2, v9
	v_mad_u64_u32 v[9:10], null, s5, v12, v[2:3]
	v_mul_f64 v[2:3], v[6:7], s[0:1]
	v_mul_f64 v[4:5], v[4:5], s[0:1]
	v_lshlrev_b64 v[6:7], 4, v[8:9]
	v_add_co_u32 v0, vcc_lo, v0, v6
	v_add_co_ci_u32_e32 v1, vcc_lo, v1, v7, vcc_lo
	global_store_dwordx4 v[0:1], v[2:5], off
.LBB0_15:
	s_endpgm
	.section	.rodata,"a",@progbits
	.p2align	6, 0x0
	.amdhsa_kernel bluestein_single_back_len221_dim1_dp_op_CI_CI
		.amdhsa_group_segment_fixed_size 24752
		.amdhsa_private_segment_fixed_size 176
		.amdhsa_kernarg_size 104
		.amdhsa_user_sgpr_count 6
		.amdhsa_user_sgpr_private_segment_buffer 1
		.amdhsa_user_sgpr_dispatch_ptr 0
		.amdhsa_user_sgpr_queue_ptr 0
		.amdhsa_user_sgpr_kernarg_segment_ptr 1
		.amdhsa_user_sgpr_dispatch_id 0
		.amdhsa_user_sgpr_flat_scratch_init 0
		.amdhsa_user_sgpr_private_segment_size 0
		.amdhsa_wavefront_size32 1
		.amdhsa_uses_dynamic_stack 0
		.amdhsa_system_sgpr_private_segment_wavefront_offset 1
		.amdhsa_system_sgpr_workgroup_id_x 1
		.amdhsa_system_sgpr_workgroup_id_y 0
		.amdhsa_system_sgpr_workgroup_id_z 0
		.amdhsa_system_sgpr_workgroup_info 0
		.amdhsa_system_vgpr_workitem_id 0
		.amdhsa_next_free_vgpr 256
		.amdhsa_next_free_sgpr 64
		.amdhsa_reserve_vcc 1
		.amdhsa_reserve_flat_scratch 0
		.amdhsa_float_round_mode_32 0
		.amdhsa_float_round_mode_16_64 0
		.amdhsa_float_denorm_mode_32 3
		.amdhsa_float_denorm_mode_16_64 3
		.amdhsa_dx10_clamp 1
		.amdhsa_ieee_mode 1
		.amdhsa_fp16_overflow 0
		.amdhsa_workgroup_processor_mode 1
		.amdhsa_memory_ordered 1
		.amdhsa_forward_progress 0
		.amdhsa_shared_vgpr_count 0
		.amdhsa_exception_fp_ieee_invalid_op 0
		.amdhsa_exception_fp_denorm_src 0
		.amdhsa_exception_fp_ieee_div_zero 0
		.amdhsa_exception_fp_ieee_overflow 0
		.amdhsa_exception_fp_ieee_underflow 0
		.amdhsa_exception_fp_ieee_inexact 0
		.amdhsa_exception_int_div_zero 0
	.end_amdhsa_kernel
	.text
.Lfunc_end0:
	.size	bluestein_single_back_len221_dim1_dp_op_CI_CI, .Lfunc_end0-bluestein_single_back_len221_dim1_dp_op_CI_CI
                                        ; -- End function
	.section	.AMDGPU.csdata,"",@progbits
; Kernel info:
; codeLenInByte = 27800
; NumSgprs: 66
; NumVgprs: 256
; ScratchSize: 176
; MemoryBound: 0
; FloatMode: 240
; IeeeMode: 1
; LDSByteSize: 24752 bytes/workgroup (compile time only)
; SGPRBlocks: 8
; VGPRBlocks: 31
; NumSGPRsForWavesPerEU: 66
; NumVGPRsForWavesPerEU: 256
; Occupancy: 4
; WaveLimiterHint : 1
; COMPUTE_PGM_RSRC2:SCRATCH_EN: 1
; COMPUTE_PGM_RSRC2:USER_SGPR: 6
; COMPUTE_PGM_RSRC2:TRAP_HANDLER: 0
; COMPUTE_PGM_RSRC2:TGID_X_EN: 1
; COMPUTE_PGM_RSRC2:TGID_Y_EN: 0
; COMPUTE_PGM_RSRC2:TGID_Z_EN: 0
; COMPUTE_PGM_RSRC2:TIDIG_COMP_CNT: 0
	.text
	.p2alignl 6, 3214868480
	.fill 48, 4, 3214868480
	.type	__hip_cuid_eadb4a3c4303171c,@object ; @__hip_cuid_eadb4a3c4303171c
	.section	.bss,"aw",@nobits
	.globl	__hip_cuid_eadb4a3c4303171c
__hip_cuid_eadb4a3c4303171c:
	.byte	0                               ; 0x0
	.size	__hip_cuid_eadb4a3c4303171c, 1

	.ident	"AMD clang version 19.0.0git (https://github.com/RadeonOpenCompute/llvm-project roc-6.4.0 25133 c7fe45cf4b819c5991fe208aaa96edf142730f1d)"
	.section	".note.GNU-stack","",@progbits
	.addrsig
	.addrsig_sym __hip_cuid_eadb4a3c4303171c
	.amdgpu_metadata
---
amdhsa.kernels:
  - .args:
      - .actual_access:  read_only
        .address_space:  global
        .offset:         0
        .size:           8
        .value_kind:     global_buffer
      - .actual_access:  read_only
        .address_space:  global
        .offset:         8
        .size:           8
        .value_kind:     global_buffer
      - .actual_access:  read_only
        .address_space:  global
        .offset:         16
        .size:           8
        .value_kind:     global_buffer
      - .actual_access:  read_only
        .address_space:  global
        .offset:         24
        .size:           8
        .value_kind:     global_buffer
      - .actual_access:  read_only
        .address_space:  global
        .offset:         32
        .size:           8
        .value_kind:     global_buffer
      - .offset:         40
        .size:           8
        .value_kind:     by_value
      - .address_space:  global
        .offset:         48
        .size:           8
        .value_kind:     global_buffer
      - .address_space:  global
        .offset:         56
        .size:           8
        .value_kind:     global_buffer
      - .address_space:  global
        .offset:         64
        .size:           8
        .value_kind:     global_buffer
      - .address_space:  global
        .offset:         72
        .size:           8
        .value_kind:     global_buffer
      - .offset:         80
        .size:           4
        .value_kind:     by_value
      - .address_space:  global
        .offset:         88
        .size:           8
        .value_kind:     global_buffer
      - .address_space:  global
        .offset:         96
        .size:           8
        .value_kind:     global_buffer
    .group_segment_fixed_size: 24752
    .kernarg_segment_align: 8
    .kernarg_segment_size: 104
    .language:       OpenCL C
    .language_version:
      - 2
      - 0
    .max_flat_workgroup_size: 119
    .name:           bluestein_single_back_len221_dim1_dp_op_CI_CI
    .private_segment_fixed_size: 176
    .sgpr_count:     66
    .sgpr_spill_count: 0
    .symbol:         bluestein_single_back_len221_dim1_dp_op_CI_CI.kd
    .uniform_work_group_size: 1
    .uses_dynamic_stack: false
    .vgpr_count:     256
    .vgpr_spill_count: 63
    .wavefront_size: 32
    .workgroup_processor_mode: 1
amdhsa.target:   amdgcn-amd-amdhsa--gfx1030
amdhsa.version:
  - 1
  - 2
...

	.end_amdgpu_metadata
